;; amdgpu-corpus repo=ROCm/rocFFT kind=compiled arch=gfx1201 opt=O3
	.text
	.amdgcn_target "amdgcn-amd-amdhsa--gfx1201"
	.amdhsa_code_object_version 6
	.protected	fft_rtc_fwd_len1456_factors_13_4_7_2_2_wgs_182_tpt_182_halfLds_dp_ip_CI_unitstride_sbrr_C2R_dirReg ; -- Begin function fft_rtc_fwd_len1456_factors_13_4_7_2_2_wgs_182_tpt_182_halfLds_dp_ip_CI_unitstride_sbrr_C2R_dirReg
	.globl	fft_rtc_fwd_len1456_factors_13_4_7_2_2_wgs_182_tpt_182_halfLds_dp_ip_CI_unitstride_sbrr_C2R_dirReg
	.p2align	8
	.type	fft_rtc_fwd_len1456_factors_13_4_7_2_2_wgs_182_tpt_182_halfLds_dp_ip_CI_unitstride_sbrr_C2R_dirReg,@function
fft_rtc_fwd_len1456_factors_13_4_7_2_2_wgs_182_tpt_182_halfLds_dp_ip_CI_unitstride_sbrr_C2R_dirReg: ; @fft_rtc_fwd_len1456_factors_13_4_7_2_2_wgs_182_tpt_182_halfLds_dp_ip_CI_unitstride_sbrr_C2R_dirReg
; %bb.0:
	s_clause 0x2
	s_load_b128 s[4:7], s[0:1], 0x0
	s_load_b64 s[8:9], s[0:1], 0x50
	s_load_b64 s[10:11], s[0:1], 0x18
	v_mul_u32_u24_e32 v1, 0x169, v0
	v_mov_b32_e32 v3, 0
	s_delay_alu instid0(VALU_DEP_2) | instskip(NEXT) | instid1(VALU_DEP_1)
	v_lshrrev_b32_e32 v1, 16, v1
	v_add_nc_u32_e32 v5, ttmp9, v1
	v_mov_b32_e32 v1, 0
	v_mov_b32_e32 v2, 0
	;; [unrolled: 1-line block ×3, first 2 shown]
	s_wait_kmcnt 0x0
	v_cmp_lt_u64_e64 s2, s[6:7], 2
	s_delay_alu instid0(VALU_DEP_1)
	s_and_b32 vcc_lo, exec_lo, s2
	s_cbranch_vccnz .LBB0_8
; %bb.1:
	s_load_b64 s[2:3], s[0:1], 0x10
	v_mov_b32_e32 v1, 0
	v_mov_b32_e32 v2, 0
	s_add_nc_u64 s[12:13], s[10:11], 8
	s_mov_b64 s[14:15], 1
	s_wait_kmcnt 0x0
	s_add_nc_u64 s[16:17], s[2:3], 8
	s_mov_b32 s3, 0
.LBB0_2:                                ; =>This Inner Loop Header: Depth=1
	s_load_b64 s[18:19], s[16:17], 0x0
                                        ; implicit-def: $vgpr7_vgpr8
	s_mov_b32 s2, exec_lo
	s_wait_kmcnt 0x0
	v_or_b32_e32 v4, s19, v6
	s_delay_alu instid0(VALU_DEP_1)
	v_cmpx_ne_u64_e32 0, v[3:4]
	s_wait_alu 0xfffe
	s_xor_b32 s20, exec_lo, s2
	s_cbranch_execz .LBB0_4
; %bb.3:                                ;   in Loop: Header=BB0_2 Depth=1
	s_cvt_f32_u32 s2, s18
	s_cvt_f32_u32 s21, s19
	s_sub_nc_u64 s[24:25], 0, s[18:19]
	s_wait_alu 0xfffe
	s_delay_alu instid0(SALU_CYCLE_1) | instskip(SKIP_1) | instid1(SALU_CYCLE_2)
	s_fmamk_f32 s2, s21, 0x4f800000, s2
	s_wait_alu 0xfffe
	v_s_rcp_f32 s2, s2
	s_delay_alu instid0(TRANS32_DEP_1) | instskip(SKIP_1) | instid1(SALU_CYCLE_2)
	s_mul_f32 s2, s2, 0x5f7ffffc
	s_wait_alu 0xfffe
	s_mul_f32 s21, s2, 0x2f800000
	s_wait_alu 0xfffe
	s_delay_alu instid0(SALU_CYCLE_2) | instskip(SKIP_1) | instid1(SALU_CYCLE_2)
	s_trunc_f32 s21, s21
	s_wait_alu 0xfffe
	s_fmamk_f32 s2, s21, 0xcf800000, s2
	s_cvt_u32_f32 s23, s21
	s_wait_alu 0xfffe
	s_delay_alu instid0(SALU_CYCLE_1) | instskip(SKIP_1) | instid1(SALU_CYCLE_2)
	s_cvt_u32_f32 s22, s2
	s_wait_alu 0xfffe
	s_mul_u64 s[26:27], s[24:25], s[22:23]
	s_wait_alu 0xfffe
	s_mul_hi_u32 s29, s22, s27
	s_mul_i32 s28, s22, s27
	s_mul_hi_u32 s2, s22, s26
	s_mul_i32 s30, s23, s26
	s_wait_alu 0xfffe
	s_add_nc_u64 s[28:29], s[2:3], s[28:29]
	s_mul_hi_u32 s21, s23, s26
	s_mul_hi_u32 s31, s23, s27
	s_add_co_u32 s2, s28, s30
	s_wait_alu 0xfffe
	s_add_co_ci_u32 s2, s29, s21
	s_mul_i32 s26, s23, s27
	s_add_co_ci_u32 s27, s31, 0
	s_wait_alu 0xfffe
	s_add_nc_u64 s[26:27], s[2:3], s[26:27]
	s_wait_alu 0xfffe
	v_add_co_u32 v4, s2, s22, s26
	s_delay_alu instid0(VALU_DEP_1) | instskip(SKIP_1) | instid1(VALU_DEP_1)
	s_cmp_lg_u32 s2, 0
	s_add_co_ci_u32 s23, s23, s27
	v_readfirstlane_b32 s22, v4
	s_wait_alu 0xfffe
	s_delay_alu instid0(VALU_DEP_1)
	s_mul_u64 s[24:25], s[24:25], s[22:23]
	s_wait_alu 0xfffe
	s_mul_hi_u32 s27, s22, s25
	s_mul_i32 s26, s22, s25
	s_mul_hi_u32 s2, s22, s24
	s_mul_i32 s28, s23, s24
	s_wait_alu 0xfffe
	s_add_nc_u64 s[26:27], s[2:3], s[26:27]
	s_mul_hi_u32 s21, s23, s24
	s_mul_hi_u32 s22, s23, s25
	s_wait_alu 0xfffe
	s_add_co_u32 s2, s26, s28
	s_add_co_ci_u32 s2, s27, s21
	s_mul_i32 s24, s23, s25
	s_add_co_ci_u32 s25, s22, 0
	s_wait_alu 0xfffe
	s_add_nc_u64 s[24:25], s[2:3], s[24:25]
	s_wait_alu 0xfffe
	v_add_co_u32 v4, s2, v4, s24
	s_delay_alu instid0(VALU_DEP_1) | instskip(SKIP_1) | instid1(VALU_DEP_1)
	s_cmp_lg_u32 s2, 0
	s_add_co_ci_u32 s2, s23, s25
	v_mul_hi_u32 v13, v5, v4
	s_wait_alu 0xfffe
	v_mad_co_u64_u32 v[7:8], null, v5, s2, 0
	v_mad_co_u64_u32 v[9:10], null, v6, v4, 0
	;; [unrolled: 1-line block ×3, first 2 shown]
	s_delay_alu instid0(VALU_DEP_3) | instskip(SKIP_1) | instid1(VALU_DEP_4)
	v_add_co_u32 v4, vcc_lo, v13, v7
	s_wait_alu 0xfffd
	v_add_co_ci_u32_e32 v7, vcc_lo, 0, v8, vcc_lo
	s_delay_alu instid0(VALU_DEP_2) | instskip(SKIP_1) | instid1(VALU_DEP_2)
	v_add_co_u32 v4, vcc_lo, v4, v9
	s_wait_alu 0xfffd
	v_add_co_ci_u32_e32 v4, vcc_lo, v7, v10, vcc_lo
	s_wait_alu 0xfffd
	v_add_co_ci_u32_e32 v7, vcc_lo, 0, v12, vcc_lo
	s_delay_alu instid0(VALU_DEP_2) | instskip(SKIP_1) | instid1(VALU_DEP_2)
	v_add_co_u32 v4, vcc_lo, v4, v11
	s_wait_alu 0xfffd
	v_add_co_ci_u32_e32 v9, vcc_lo, 0, v7, vcc_lo
	s_delay_alu instid0(VALU_DEP_2) | instskip(SKIP_1) | instid1(VALU_DEP_3)
	v_mul_lo_u32 v10, s19, v4
	v_mad_co_u64_u32 v[7:8], null, s18, v4, 0
	v_mul_lo_u32 v11, s18, v9
	s_delay_alu instid0(VALU_DEP_2) | instskip(NEXT) | instid1(VALU_DEP_2)
	v_sub_co_u32 v7, vcc_lo, v5, v7
	v_add3_u32 v8, v8, v11, v10
	s_delay_alu instid0(VALU_DEP_1) | instskip(SKIP_1) | instid1(VALU_DEP_1)
	v_sub_nc_u32_e32 v10, v6, v8
	s_wait_alu 0xfffd
	v_subrev_co_ci_u32_e64 v10, s2, s19, v10, vcc_lo
	v_add_co_u32 v11, s2, v4, 2
	s_wait_alu 0xf1ff
	v_add_co_ci_u32_e64 v12, s2, 0, v9, s2
	v_sub_co_u32 v13, s2, v7, s18
	v_sub_co_ci_u32_e32 v8, vcc_lo, v6, v8, vcc_lo
	s_wait_alu 0xf1ff
	v_subrev_co_ci_u32_e64 v10, s2, 0, v10, s2
	s_delay_alu instid0(VALU_DEP_3) | instskip(NEXT) | instid1(VALU_DEP_3)
	v_cmp_le_u32_e32 vcc_lo, s18, v13
	v_cmp_eq_u32_e64 s2, s19, v8
	s_wait_alu 0xfffd
	v_cndmask_b32_e64 v13, 0, -1, vcc_lo
	v_cmp_le_u32_e32 vcc_lo, s19, v10
	s_wait_alu 0xfffd
	v_cndmask_b32_e64 v14, 0, -1, vcc_lo
	v_cmp_le_u32_e32 vcc_lo, s18, v7
	;; [unrolled: 3-line block ×3, first 2 shown]
	s_wait_alu 0xfffd
	v_cndmask_b32_e64 v15, 0, -1, vcc_lo
	v_cmp_eq_u32_e32 vcc_lo, s19, v10
	s_wait_alu 0xf1ff
	s_delay_alu instid0(VALU_DEP_2)
	v_cndmask_b32_e64 v7, v15, v7, s2
	s_wait_alu 0xfffd
	v_cndmask_b32_e32 v10, v14, v13, vcc_lo
	v_add_co_u32 v13, vcc_lo, v4, 1
	s_wait_alu 0xfffd
	v_add_co_ci_u32_e32 v14, vcc_lo, 0, v9, vcc_lo
	s_delay_alu instid0(VALU_DEP_3) | instskip(SKIP_2) | instid1(VALU_DEP_3)
	v_cmp_ne_u32_e32 vcc_lo, 0, v10
	s_wait_alu 0xfffd
	v_cndmask_b32_e32 v10, v13, v11, vcc_lo
	v_cndmask_b32_e32 v8, v14, v12, vcc_lo
	v_cmp_ne_u32_e32 vcc_lo, 0, v7
	s_wait_alu 0xfffd
	s_delay_alu instid0(VALU_DEP_2)
	v_dual_cndmask_b32 v7, v4, v10 :: v_dual_cndmask_b32 v8, v9, v8
.LBB0_4:                                ;   in Loop: Header=BB0_2 Depth=1
	s_wait_alu 0xfffe
	s_and_not1_saveexec_b32 s2, s20
	s_cbranch_execz .LBB0_6
; %bb.5:                                ;   in Loop: Header=BB0_2 Depth=1
	v_cvt_f32_u32_e32 v4, s18
	s_sub_co_i32 s20, 0, s18
	s_delay_alu instid0(VALU_DEP_1) | instskip(NEXT) | instid1(TRANS32_DEP_1)
	v_rcp_iflag_f32_e32 v4, v4
	v_mul_f32_e32 v4, 0x4f7ffffe, v4
	s_delay_alu instid0(VALU_DEP_1) | instskip(SKIP_1) | instid1(VALU_DEP_1)
	v_cvt_u32_f32_e32 v4, v4
	s_wait_alu 0xfffe
	v_mul_lo_u32 v7, s20, v4
	s_delay_alu instid0(VALU_DEP_1) | instskip(NEXT) | instid1(VALU_DEP_1)
	v_mul_hi_u32 v7, v4, v7
	v_add_nc_u32_e32 v4, v4, v7
	s_delay_alu instid0(VALU_DEP_1) | instskip(NEXT) | instid1(VALU_DEP_1)
	v_mul_hi_u32 v4, v5, v4
	v_mul_lo_u32 v7, v4, s18
	v_add_nc_u32_e32 v8, 1, v4
	s_delay_alu instid0(VALU_DEP_2) | instskip(NEXT) | instid1(VALU_DEP_1)
	v_sub_nc_u32_e32 v7, v5, v7
	v_subrev_nc_u32_e32 v9, s18, v7
	v_cmp_le_u32_e32 vcc_lo, s18, v7
	s_wait_alu 0xfffd
	s_delay_alu instid0(VALU_DEP_2) | instskip(NEXT) | instid1(VALU_DEP_1)
	v_dual_cndmask_b32 v7, v7, v9 :: v_dual_cndmask_b32 v4, v4, v8
	v_cmp_le_u32_e32 vcc_lo, s18, v7
	s_delay_alu instid0(VALU_DEP_2) | instskip(SKIP_1) | instid1(VALU_DEP_1)
	v_add_nc_u32_e32 v8, 1, v4
	s_wait_alu 0xfffd
	v_dual_cndmask_b32 v7, v4, v8 :: v_dual_mov_b32 v8, v3
.LBB0_6:                                ;   in Loop: Header=BB0_2 Depth=1
	s_wait_alu 0xfffe
	s_or_b32 exec_lo, exec_lo, s2
	s_load_b64 s[20:21], s[12:13], 0x0
	s_delay_alu instid0(VALU_DEP_1)
	v_mul_lo_u32 v4, v8, s18
	v_mul_lo_u32 v11, v7, s19
	v_mad_co_u64_u32 v[9:10], null, v7, s18, 0
	s_add_nc_u64 s[14:15], s[14:15], 1
	s_add_nc_u64 s[12:13], s[12:13], 8
	s_wait_alu 0xfffe
	v_cmp_ge_u64_e64 s2, s[14:15], s[6:7]
	s_add_nc_u64 s[16:17], s[16:17], 8
	s_delay_alu instid0(VALU_DEP_2) | instskip(NEXT) | instid1(VALU_DEP_3)
	v_add3_u32 v4, v10, v11, v4
	v_sub_co_u32 v5, vcc_lo, v5, v9
	s_wait_alu 0xfffd
	s_delay_alu instid0(VALU_DEP_2) | instskip(SKIP_3) | instid1(VALU_DEP_2)
	v_sub_co_ci_u32_e32 v4, vcc_lo, v6, v4, vcc_lo
	s_and_b32 vcc_lo, exec_lo, s2
	s_wait_kmcnt 0x0
	v_mul_lo_u32 v6, s21, v5
	v_mul_lo_u32 v4, s20, v4
	v_mad_co_u64_u32 v[1:2], null, s20, v5, v[1:2]
	s_delay_alu instid0(VALU_DEP_1)
	v_add3_u32 v2, v6, v2, v4
	s_wait_alu 0xfffe
	s_cbranch_vccnz .LBB0_9
; %bb.7:                                ;   in Loop: Header=BB0_2 Depth=1
	v_dual_mov_b32 v5, v7 :: v_dual_mov_b32 v6, v8
	s_branch .LBB0_2
.LBB0_8:
	v_dual_mov_b32 v8, v6 :: v_dual_mov_b32 v7, v5
.LBB0_9:
	s_lshl_b64 s[2:3], s[6:7], 3
	v_mul_hi_u32 v3, 0x1681682, v0
	s_wait_alu 0xfffe
	s_add_nc_u64 s[2:3], s[10:11], s[2:3]
	s_load_b64 s[2:3], s[2:3], 0x0
	s_load_b64 s[0:1], s[0:1], 0x20
	s_delay_alu instid0(VALU_DEP_1)
	v_mul_u32_u24_e32 v3, 0xb6, v3
	s_wait_kmcnt 0x0
	v_mul_lo_u32 v4, s2, v8
	v_mul_lo_u32 v5, s3, v7
	v_mad_co_u64_u32 v[1:2], null, s2, v7, v[1:2]
	v_cmp_gt_u64_e32 vcc_lo, s[0:1], v[7:8]
	s_delay_alu instid0(VALU_DEP_2) | instskip(SKIP_2) | instid1(VALU_DEP_3)
	v_add3_u32 v2, v5, v2, v4
	v_sub_nc_u32_e32 v4, v0, v3
	v_mov_b32_e32 v5, 0
	v_lshlrev_b64_e32 v[0:1], 4, v[1:2]
	s_delay_alu instid0(VALU_DEP_3)
	v_mov_b32_e32 v72, v4
	scratch_store_b64 off, v[0:1], off offset:8 ; 8-byte Folded Spill
	s_and_saveexec_b32 s1, vcc_lo
	s_cbranch_execz .LBB0_13
; %bb.10:
	scratch_load_b64 v[0:1], off, off offset:8 ; 8-byte Folded Reload
	v_lshlrev_b64_e32 v[2:3], 4, v[4:5]
	v_lshl_add_u32 v38, v4, 4, 0
	s_mov_b32 s2, exec_lo
	s_wait_loadcnt 0x0
	v_add_co_u32 v0, s0, s8, v0
	s_wait_alu 0xf1ff
	v_add_co_ci_u32_e64 v1, s0, s9, v1, s0
	s_delay_alu instid0(VALU_DEP_2) | instskip(SKIP_1) | instid1(VALU_DEP_2)
	v_add_co_u32 v2, s0, v0, v2
	s_wait_alu 0xf1ff
	v_add_co_ci_u32_e64 v3, s0, v1, v3, s0
	s_clause 0x7
	global_load_b128 v[6:9], v[2:3], off
	global_load_b128 v[10:13], v[2:3], off offset:2912
	global_load_b128 v[14:17], v[2:3], off offset:5824
	;; [unrolled: 1-line block ×7, first 2 shown]
	v_dual_mov_b32 v2, v4 :: v_dual_mov_b32 v3, v5
	s_wait_loadcnt 0x7
	ds_store_b128 v38, v[6:9]
	s_wait_loadcnt 0x6
	ds_store_b128 v38, v[10:13] offset:2912
	s_wait_loadcnt 0x5
	ds_store_b128 v38, v[14:17] offset:5824
	;; [unrolled: 2-line block ×7, first 2 shown]
	v_cmpx_eq_u32_e32 0xb5, v4
	s_cbranch_execz .LBB0_12
; %bb.11:
	global_load_b128 v[5:8], v[0:1], off offset:23296
	v_mov_b32_e32 v2, 0xb5
	v_dual_mov_b32 v0, 0 :: v_dual_mov_b32 v3, 0
	v_mov_b32_e32 v4, 0xb5
	s_wait_loadcnt 0x0
	ds_store_b128 v0, v[5:8] offset:23296
.LBB0_12:
	s_wait_alu 0xfffe
	s_or_b32 exec_lo, exec_lo, s2
	v_dual_mov_b32 v72, v4 :: v_dual_mov_b32 v5, v3
	v_mov_b32_e32 v4, v2
.LBB0_13:
	s_wait_alu 0xfffe
	s_or_b32 exec_lo, exec_lo, s1
	s_delay_alu instid0(VALU_DEP_2)
	v_lshlrev_b32_e32 v0, 4, v72
	global_wb scope:SCOPE_SE
	s_wait_storecnt_dscnt 0x0
	s_barrier_signal -1
	s_barrier_wait -1
	global_inv scope:SCOPE_SE
	v_add_nc_u32_e32 v248, 0, v0
	v_sub_nc_u32_e32 v10, 0, v0
	v_lshlrev_b64_e32 v[4:5], 4, v[4:5]
	s_mov_b32 s1, exec_lo
	ds_load_b64 v[6:7], v248
	ds_load_b64 v[8:9], v10 offset:23296
	scratch_store_b64 off, v[4:5], off      ; 8-byte Folded Spill
	s_wait_dscnt 0x0
	v_add_f64_e32 v[0:1], v[6:7], v[8:9]
	v_add_f64_e64 v[2:3], v[6:7], -v[8:9]
	v_cmpx_ne_u32_e32 0, v72
	s_wait_alu 0xfffe
	s_xor_b32 s1, exec_lo, s1
	s_cbranch_execz .LBB0_15
; %bb.14:
	scratch_load_b64 v[0:1], off, off       ; 8-byte Folded Reload
	v_add_f64_e32 v[13:14], v[6:7], v[8:9]
	v_add_f64_e64 v[8:9], v[6:7], -v[8:9]
	s_wait_loadcnt 0x0
	v_add_co_u32 v0, s0, s4, v0
	s_wait_alu 0xf1ff
	v_add_co_ci_u32_e64 v1, s0, s5, v1, s0
	global_load_b128 v[2:5], v[0:1], off offset:23088
	ds_load_b64 v[0:1], v10 offset:23304
	ds_load_b64 v[11:12], v248 offset:8
	s_wait_dscnt 0x0
	v_add_f64_e32 v[6:7], v[0:1], v[11:12]
	v_add_f64_e64 v[0:1], v[11:12], -v[0:1]
	s_wait_loadcnt 0x0
	v_fma_f64 v[11:12], v[8:9], v[4:5], v[13:14]
	v_fma_f64 v[13:14], -v[8:9], v[4:5], v[13:14]
	s_delay_alu instid0(VALU_DEP_3) | instskip(SKIP_1) | instid1(VALU_DEP_4)
	v_fma_f64 v[15:16], v[6:7], v[4:5], -v[0:1]
	v_fma_f64 v[17:18], v[6:7], v[4:5], v[0:1]
	v_fma_f64 v[0:1], -v[6:7], v[2:3], v[11:12]
	s_delay_alu instid0(VALU_DEP_4) | instskip(NEXT) | instid1(VALU_DEP_4)
	v_fma_f64 v[4:5], v[6:7], v[2:3], v[13:14]
	v_fma_f64 v[6:7], v[8:9], v[2:3], v[15:16]
	s_delay_alu instid0(VALU_DEP_4)
	v_fma_f64 v[2:3], v[8:9], v[2:3], v[17:18]
	ds_store_b128 v10, v[4:7] offset:23296
.LBB0_15:
	s_wait_alu 0xfffe
	s_and_not1_saveexec_b32 s0, s1
	s_cbranch_execz .LBB0_17
; %bb.16:
	v_mov_b32_e32 v8, 0
	ds_load_b128 v[4:7], v8 offset:11648
	s_wait_dscnt 0x0
	v_add_f64_e32 v[4:5], v[4:5], v[4:5]
	v_mul_f64_e32 v[6:7], -2.0, v[6:7]
	ds_store_b128 v8, v[4:7] offset:11648
.LBB0_17:
	s_wait_alu 0xfffe
	s_or_b32 exec_lo, exec_lo, s0
	v_mov_b32_e32 v73, 0
	s_add_nc_u64 s[0:1], s[4:5], 0x5a30
	s_mov_b32 s24, 0x4267c47c
	s_mov_b32 s20, 0x42a4c3d2
	;; [unrolled: 1-line block ×3, first 2 shown]
	v_lshlrev_b64_e32 v[4:5], 4, v[72:73]
	s_mov_b32 s21, 0xbfea55e2
	s_mov_b32 s10, 0xe00740e9
	;; [unrolled: 1-line block ×5, first 2 shown]
	s_wait_alu 0xfffe
	v_add_co_u32 v8, s0, s0, v4
	s_wait_alu 0xf1ff
	v_add_co_ci_u32_e64 v9, s0, s1, v5, s0
	scratch_store_b64 off, v[4:5], off offset:16 ; 8-byte Folded Spill
	s_mov_b32 s11, 0x3fec55a7
	s_mov_b32 s3, 0x3fe22d96
	s_clause 0x1
	global_load_b128 v[4:7], v[8:9], off offset:2912
	global_load_b128 v[11:14], v[8:9], off offset:5824
	ds_store_b128 v248, v[0:3]
	ds_load_b128 v[0:3], v248 offset:2912
	ds_load_b128 v[15:18], v10 offset:20384
	global_load_b128 v[19:22], v[8:9], off offset:8736
	s_mov_b32 s23, 0xbfefc445
	s_mov_b32 s19, 0xbfedeba7
	;; [unrolled: 1-line block ×18, first 2 shown]
	s_wait_dscnt 0x0
	v_add_f64_e32 v[8:9], v[0:1], v[15:16]
	v_add_f64_e32 v[23:24], v[17:18], v[2:3]
	v_add_f64_e64 v[15:16], v[0:1], -v[15:16]
	v_add_f64_e64 v[0:1], v[2:3], -v[17:18]
	s_mov_b32 s37, 0x3fefc445
	s_mov_b32 s39, 0x3fddbe06
	;; [unrolled: 1-line block ×5, first 2 shown]
	s_wait_alu 0xfffe
	s_mov_b32 s42, s26
	s_mov_b32 s41, 0x3fea55e2
	;; [unrolled: 1-line block ×3, first 2 shown]
	s_mov_b32 s1, exec_lo
	s_wait_loadcnt 0x2
	s_delay_alu instid0(VALU_DEP_2) | instskip(NEXT) | instid1(VALU_DEP_2)
	v_fma_f64 v[2:3], v[15:16], v[6:7], v[8:9]
	v_fma_f64 v[17:18], v[23:24], v[6:7], v[0:1]
	v_fma_f64 v[8:9], -v[15:16], v[6:7], v[8:9]
	v_fma_f64 v[25:26], v[23:24], v[6:7], -v[0:1]
	s_delay_alu instid0(VALU_DEP_4) | instskip(NEXT) | instid1(VALU_DEP_4)
	v_fma_f64 v[0:1], -v[23:24], v[4:5], v[2:3]
	v_fma_f64 v[2:3], v[15:16], v[4:5], v[17:18]
	s_delay_alu instid0(VALU_DEP_4) | instskip(NEXT) | instid1(VALU_DEP_4)
	v_fma_f64 v[6:7], v[23:24], v[4:5], v[8:9]
	v_fma_f64 v[8:9], v[15:16], v[4:5], v[25:26]
	ds_store_b128 v248, v[0:3] offset:2912
	ds_store_b128 v10, v[6:9] offset:20384
	ds_load_b128 v[0:3], v248 offset:5824
	ds_load_b128 v[4:7], v10 offset:17472
	s_wait_dscnt 0x0
	v_add_f64_e32 v[8:9], v[0:1], v[4:5]
	v_add_f64_e32 v[15:16], v[6:7], v[2:3]
	v_add_f64_e64 v[17:18], v[0:1], -v[4:5]
	v_add_f64_e64 v[0:1], v[2:3], -v[6:7]
	s_wait_loadcnt 0x1
	s_delay_alu instid0(VALU_DEP_2) | instskip(NEXT) | instid1(VALU_DEP_2)
	v_fma_f64 v[2:3], v[17:18], v[13:14], v[8:9]
	v_fma_f64 v[4:5], v[15:16], v[13:14], v[0:1]
	v_fma_f64 v[6:7], -v[17:18], v[13:14], v[8:9]
	v_fma_f64 v[8:9], v[15:16], v[13:14], -v[0:1]
	s_delay_alu instid0(VALU_DEP_4) | instskip(NEXT) | instid1(VALU_DEP_4)
	v_fma_f64 v[0:1], -v[15:16], v[11:12], v[2:3]
	v_fma_f64 v[2:3], v[17:18], v[11:12], v[4:5]
	s_delay_alu instid0(VALU_DEP_4) | instskip(NEXT) | instid1(VALU_DEP_4)
	v_fma_f64 v[4:5], v[15:16], v[11:12], v[6:7]
	v_fma_f64 v[6:7], v[17:18], v[11:12], v[8:9]
	ds_store_b128 v248, v[0:3] offset:5824
	ds_store_b128 v10, v[4:7] offset:17472
	ds_load_b128 v[0:3], v248 offset:8736
	ds_load_b128 v[4:7], v10 offset:14560
	s_wait_dscnt 0x0
	v_add_f64_e32 v[8:9], v[0:1], v[4:5]
	v_add_f64_e32 v[11:12], v[6:7], v[2:3]
	v_add_f64_e64 v[13:14], v[0:1], -v[4:5]
	v_add_f64_e64 v[0:1], v[2:3], -v[6:7]
	s_wait_loadcnt 0x0
	s_delay_alu instid0(VALU_DEP_2) | instskip(NEXT) | instid1(VALU_DEP_2)
	v_fma_f64 v[2:3], v[13:14], v[21:22], v[8:9]
	v_fma_f64 v[4:5], v[11:12], v[21:22], v[0:1]
	v_fma_f64 v[6:7], -v[13:14], v[21:22], v[8:9]
	v_fma_f64 v[8:9], v[11:12], v[21:22], -v[0:1]
	s_delay_alu instid0(VALU_DEP_4) | instskip(NEXT) | instid1(VALU_DEP_4)
	v_fma_f64 v[0:1], -v[11:12], v[19:20], v[2:3]
	v_fma_f64 v[2:3], v[13:14], v[19:20], v[4:5]
	s_delay_alu instid0(VALU_DEP_4) | instskip(NEXT) | instid1(VALU_DEP_4)
	v_fma_f64 v[4:5], v[11:12], v[19:20], v[6:7]
	v_fma_f64 v[6:7], v[13:14], v[19:20], v[8:9]
	ds_store_b128 v248, v[0:3] offset:8736
	ds_store_b128 v10, v[4:7] offset:14560
	global_wb scope:SCOPE_SE
	s_wait_storecnt_dscnt 0x0
	s_barrier_signal -1
	s_barrier_wait -1
	global_inv scope:SCOPE_SE
	global_wb scope:SCOPE_SE
	s_barrier_signal -1
	s_barrier_wait -1
	global_inv scope:SCOPE_SE
	ds_load_b128 v[20:23], v248 offset:21504
	ds_load_b128 v[24:27], v248 offset:1792
	ds_load_b128 v[28:31], v248
	ds_load_b128 v[32:35], v248 offset:19712
	ds_load_b128 v[48:51], v248 offset:3584
	;; [unrolled: 1-line block ×8, first 2 shown]
	s_wait_dscnt 0x9
	v_add_f64_e64 v[134:135], v[26:27], -v[22:23]
	v_add_f64_e64 v[156:157], v[24:25], -v[20:21]
	v_add_f64_e32 v[138:139], v[24:25], v[20:21]
	v_add_f64_e32 v[144:145], v[26:27], v[22:23]
	s_wait_dscnt 0x6
	v_add_f64_e64 v[122:123], v[50:51], -v[34:35]
	v_add_f64_e64 v[114:115], v[48:49], -v[32:33]
	v_add_f64_e32 v[80:81], v[48:49], v[32:33]
	v_add_f64_e32 v[82:83], v[50:51], v[34:35]
	s_wait_dscnt 0x4
	v_add_f64_e64 v[128:129], v[54:55], -v[38:39]
	v_add_f64_e64 v[118:119], v[52:53], -v[36:37]
	s_wait_dscnt 0x2
	v_add_f64_e64 v[142:143], v[62:63], -v[42:43]
	v_add_f64_e64 v[126:127], v[60:61], -v[40:41]
	v_add_f64_e32 v[88:89], v[52:53], v[36:37]
	v_add_f64_e32 v[92:93], v[54:55], v[38:39]
	v_add_f64_e32 v[96:97], v[60:61], v[40:41]
	v_add_f64_e32 v[98:99], v[62:63], v[42:43]
	s_wait_dscnt 0x0
	v_add_f64_e64 v[184:185], v[58:59], -v[46:47]
	v_add_f64_e64 v[176:177], v[56:57], -v[44:45]
	v_add_f64_e32 v[104:105], v[56:57], v[44:45]
	v_add_f64_e32 v[108:109], v[58:59], v[46:47]
	v_mul_f64_e32 v[140:141], s[24:25], v[134:135]
	v_mul_f64_e32 v[148:149], s[24:25], v[156:157]
	;; [unrolled: 1-line block ×38, first 2 shown]
	v_fma_f64 v[0:1], v[138:139], s[10:11], v[140:141]
	v_fma_f64 v[2:3], v[144:145], s[10:11], -v[148:149]
	v_fma_f64 v[4:5], v[138:139], s[2:3], v[154:155]
	v_fma_f64 v[6:7], v[144:145], s[2:3], -v[158:159]
	scratch_store_b64 off, v[8:9], off offset:24 ; 8-byte Folded Spill
	v_fma_f64 v[8:9], v[80:81], s[2:3], v[8:9]
	v_fma_f64 v[10:11], v[82:83], s[2:3], -v[86:87]
	v_fma_f64 v[12:13], v[138:139], s[12:13], v[164:165]
	v_fma_f64 v[14:15], v[144:145], s[12:13], -v[168:169]
	;; [unrolled: 2-line block ×5, first 2 shown]
	ds_load_b128 v[68:71], v248 offset:10752
	ds_load_b128 v[64:67], v248 offset:12544
	v_fma_f64 v[186:187], v[80:81], s[14:15], v[124:125]
	v_fma_f64 v[190:191], v[82:83], s[14:15], -v[132:133]
	v_mul_f64_e32 v[204:205], s[22:23], v[126:127]
	global_wb scope:SCOPE_SE
	s_wait_storecnt_dscnt 0x0
	v_fma_f64 v[218:219], v[96:97], s[16:17], v[166:167]
	v_fma_f64 v[220:221], v[98:99], s[16:17], -v[170:171]
	v_fma_f64 v[214:215], v[88:89], s[6:7], v[150:151]
	v_fma_f64 v[216:217], v[92:93], s[6:7], -v[152:153]
	;; [unrolled: 2-line block ×6, first 2 shown]
	s_barrier_signal -1
	s_barrier_wait -1
	global_inv scope:SCOPE_SE
	v_add_f64_e64 v[198:199], v[70:71], -v[66:67]
	v_add_f64_e64 v[194:195], v[68:69], -v[64:65]
	v_fma_f64 v[242:243], v[144:145], s[16:17], -v[246:247]
	v_add_f64_e32 v[0:1], v[28:29], v[0:1]
	v_add_f64_e32 v[2:3], v[30:31], v[2:3]
	;; [unrolled: 1-line block ×6, first 2 shown]
	v_fma_f64 v[253:254], v[98:99], s[12:13], -v[204:205]
	v_mul_f64_e32 v[222:223], s[38:39], v[198:199]
	v_mul_f64_e32 v[228:229], s[38:39], v[194:195]
	;; [unrolled: 1-line block ×3, first 2 shown]
	v_add_f64_e32 v[0:1], v[8:9], v[0:1]
	v_add_f64_e32 v[2:3], v[10:11], v[2:3]
	v_fma_f64 v[8:9], v[138:139], s[6:7], v[192:193]
	v_fma_f64 v[10:11], v[144:145], s[6:7], -v[196:197]
	v_add_f64_e32 v[4:5], v[16:17], v[4:5]
	v_add_f64_e32 v[6:7], v[18:19], v[6:7]
	v_fma_f64 v[16:17], v[96:97], s[6:7], v[100:101]
	v_fma_f64 v[18:19], v[98:99], s[6:7], -v[102:103]
	v_add_f64_e32 v[12:13], v[186:187], v[12:13]
	v_add_f64_e32 v[14:15], v[190:191], v[14:15]
	;; [unrolled: 1-line block ×3, first 2 shown]
	v_mul_f64_e32 v[190:191], s[26:27], v[194:195]
	v_add_f64_e32 v[242:243], v[30:31], v[242:243]
	v_mul_f64_e32 v[224:225], s[28:29], v[198:199]
	v_add_f64_e32 v[0:1], v[178:179], v[0:1]
	v_add_f64_e32 v[2:3], v[182:183], v[2:3]
	;; [unrolled: 1-line block ×7, first 2 shown]
	v_mul_f64_e32 v[182:183], s[26:27], v[198:199]
	v_mul_f64_e32 v[202:203], s[22:23], v[142:143]
	v_add_f64_e32 v[12:13], v[214:215], v[12:13]
	v_add_f64_e32 v[14:15], v[216:217], v[14:15]
	v_mul_f64_e32 v[200:201], s[36:37], v[122:123]
	v_mul_f64_e32 v[214:215], s[42:43], v[184:185]
	;; [unrolled: 1-line block ×3, first 2 shown]
	v_fma_f64 v[251:252], v[186:187], s[14:15], -v[190:191]
	v_fma_f64 v[73:74], v[186:187], s[10:11], -v[228:229]
	v_add_f64_e32 v[0:1], v[16:17], v[0:1]
	v_add_f64_e32 v[2:3], v[18:19], v[2:3]
	v_fma_f64 v[16:17], v[88:89], s[10:11], v[160:161]
	v_fma_f64 v[18:19], v[92:93], s[10:11], -v[162:163]
	v_add_f64_e32 v[8:9], v[206:207], v[8:9]
	v_add_f64_e32 v[10:11], v[208:209], v[10:11]
	;; [unrolled: 1-line block ×4, first 2 shown]
	v_fma_f64 v[220:221], v[138:139], s[16:17], v[244:245]
	v_mul_f64_e32 v[206:207], s[36:37], v[114:115]
	v_mul_f64_e32 v[208:209], s[20:21], v[128:129]
	v_fma_f64 v[249:250], v[178:179], s[14:15], v[182:183]
	v_add_f64_e32 v[12:13], v[234:235], v[12:13]
	v_fma_f64 v[234:235], v[178:179], s[10:11], v[222:223]
	v_add_f64_e32 v[14:15], v[236:237], v[14:15]
	v_mul_f64_e32 v[218:219], s[20:21], v[118:119]
	v_fma_f64 v[75:76], v[80:81], s[12:13], v[200:201]
	v_mul_f64_e32 v[236:237], s[40:41], v[194:195]
	v_add_f64_e32 v[0:1], v[226:227], v[0:1]
	v_add_f64_e32 v[2:3], v[232:233], v[2:3]
	v_fma_f64 v[232:233], v[96:97], s[12:13], v[202:203]
	v_mul_f64_e32 v[226:227], s[40:41], v[198:199]
	v_add_f64_e32 v[8:9], v[16:17], v[8:9]
	v_fma_f64 v[16:17], v[104:105], s[2:3], v[210:211]
	v_add_f64_e32 v[10:11], v[18:19], v[10:11]
	v_fma_f64 v[18:19], v[108:109], s[2:3], -v[212:213]
	v_add_f64_e32 v[238:239], v[238:239], v[4:5]
	v_add_f64_e32 v[240:241], v[240:241], v[6:7]
	;; [unrolled: 1-line block ×3, first 2 shown]
	v_fma_f64 v[84:85], v[82:83], s[12:13], -v[206:207]
	v_mul_f64_e32 v[220:221], s[42:43], v[142:143]
	v_add_f64_e32 v[4:5], v[249:250], v[0:1]
	v_add_f64_e32 v[6:7], v[251:252], v[2:3]
	v_fma_f64 v[251:252], v[104:105], s[14:15], v[214:215]
	v_fma_f64 v[249:250], v[178:179], s[16:17], v[224:225]
	v_add_f64_e32 v[8:9], v[232:233], v[8:9]
	v_add_f64_e32 v[12:13], v[16:17], v[12:13]
	v_add_f64_e32 v[10:11], v[253:254], v[10:11]
	v_fma_f64 v[16:17], v[108:109], s[14:15], -v[216:217]
	v_add_f64_e32 v[14:15], v[18:19], v[14:15]
	v_fma_f64 v[18:19], v[186:187], s[16:17], -v[230:231]
	v_add_f64_e32 v[0:1], v[234:235], v[238:239]
	v_add_f64_e32 v[2:3], v[73:74], v[240:241]
	v_mul_f64_e32 v[234:235], s[42:43], v[126:127]
	v_fma_f64 v[73:74], v[88:89], s[2:3], v[208:209]
	v_add_f64_e32 v[75:76], v[75:76], v[77:78]
	v_fma_f64 v[77:78], v[92:93], s[2:3], -v[218:219]
	v_add_f64_e32 v[84:85], v[84:85], v[242:243]
	v_mul_f64_e32 v[232:233], s[38:39], v[184:185]
	v_fma_f64 v[253:254], v[186:187], s[2:3], -v[236:237]
	v_mul_f64_e32 v[240:241], s[38:39], v[176:177]
	v_mul_f64_e32 v[238:239], s[18:19], v[198:199]
	v_add_f64_e32 v[242:243], v[251:252], v[8:9]
	v_fma_f64 v[251:252], v[178:179], s[2:3], v[226:227]
	v_add_f64_e32 v[8:9], v[249:250], v[12:13]
	v_add_f64_e32 v[16:17], v[16:17], v[10:11]
	;; [unrolled: 1-line block ×3, first 2 shown]
	v_fma_f64 v[18:19], v[96:97], s[14:15], v[220:221]
	v_add_f64_e32 v[73:74], v[73:74], v[75:76]
	v_fma_f64 v[75:76], v[98:99], s[14:15], -v[234:235]
	v_add_f64_e32 v[77:78], v[77:78], v[84:85]
	v_add_f64_e32 v[12:13], v[251:252], v[242:243]
	v_mul_f64_e32 v[242:243], s[18:19], v[194:195]
	v_add_f64_e32 v[14:15], v[253:254], v[16:17]
	v_fma_f64 v[16:17], v[104:105], s[10:11], v[232:233]
	v_add_f64_e32 v[18:19], v[18:19], v[73:74]
	v_fma_f64 v[73:74], v[108:109], s[10:11], -v[240:241]
	v_add_f64_e32 v[75:76], v[75:76], v[77:78]
	v_fma_f64 v[77:78], v[178:179], s[6:7], v[238:239]
	s_delay_alu instid0(VALU_DEP_4) | instskip(SKIP_1) | instid1(VALU_DEP_4)
	v_add_f64_e32 v[16:17], v[16:17], v[18:19]
	v_fma_f64 v[18:19], v[186:187], s[6:7], -v[242:243]
	v_add_f64_e32 v[73:74], v[73:74], v[75:76]
	s_delay_alu instid0(VALU_DEP_3) | instskip(NEXT) | instid1(VALU_DEP_2)
	v_add_f64_e32 v[16:17], v[77:78], v[16:17]
	v_add_f64_e32 v[18:19], v[18:19], v[73:74]
	v_cmpx_gt_u32_e32 0x70, v72
	s_cbranch_execz .LBB0_19
; %bb.18:
	v_add_f64_e32 v[26:27], v[30:31], v[26:27]
	v_add_f64_e32 v[24:25], v[28:29], v[24:25]
	v_mul_f64_e32 v[73:74], s[12:13], v[186:187]
	s_delay_alu instid0(VALU_DEP_3) | instskip(NEXT) | instid1(VALU_DEP_3)
	v_add_f64_e32 v[26:27], v[26:27], v[50:51]
	v_add_f64_e32 v[24:25], v[24:25], v[48:49]
	v_mul_f64_e32 v[50:51], s[26:27], v[134:135]
	v_mul_f64_e32 v[48:49], s[10:11], v[144:145]
	s_delay_alu instid0(VALU_DEP_4) | instskip(NEXT) | instid1(VALU_DEP_4)
	v_add_f64_e32 v[26:27], v[26:27], v[54:55]
	v_add_f64_e32 v[24:25], v[24:25], v[52:53]
	v_mul_f64_e32 v[54:55], s[10:11], v[138:139]
	v_fma_f64 v[52:53], v[138:139], s[14:15], v[50:51]
	v_fma_f64 v[50:51], v[138:139], s[14:15], -v[50:51]
	v_add_f64_e32 v[48:49], v[148:149], v[48:49]
	v_add_f64_e32 v[26:27], v[26:27], v[62:63]
	;; [unrolled: 1-line block ×3, first 2 shown]
	v_add_f64_e64 v[54:55], v[54:55], -v[140:141]
	v_add_f64_e32 v[52:53], v[28:29], v[52:53]
	v_add_f64_e32 v[50:51], v[28:29], v[50:51]
	;; [unrolled: 1-line block ×6, first 2 shown]
	s_delay_alu instid0(VALU_DEP_3) | instskip(NEXT) | instid1(VALU_DEP_3)
	v_add_f64_e32 v[26:27], v[26:27], v[70:71]
	v_add_f64_e32 v[24:25], v[24:25], v[68:69]
	v_mul_f64_e32 v[70:71], s[36:37], v[198:199]
	s_delay_alu instid0(VALU_DEP_3) | instskip(NEXT) | instid1(VALU_DEP_3)
	v_add_f64_e32 v[26:27], v[26:27], v[66:67]
	v_add_f64_e32 v[24:25], v[24:25], v[64:65]
	s_delay_alu instid0(VALU_DEP_2) | instskip(NEXT) | instid1(VALU_DEP_2)
	v_add_f64_e32 v[26:27], v[26:27], v[46:47]
	v_add_f64_e32 v[24:25], v[24:25], v[44:45]
	v_mul_f64_e32 v[46:47], s[2:3], v[138:139]
	v_mul_f64_e32 v[44:45], s[2:3], v[144:145]
	s_delay_alu instid0(VALU_DEP_4) | instskip(NEXT) | instid1(VALU_DEP_4)
	v_add_f64_e32 v[26:27], v[26:27], v[42:43]
	v_add_f64_e32 v[24:25], v[24:25], v[40:41]
	v_mul_f64_e32 v[42:43], s[12:13], v[138:139]
	v_mul_f64_e32 v[40:41], s[12:13], v[144:145]
	v_add_f64_e64 v[46:47], v[46:47], -v[154:155]
	v_add_f64_e32 v[44:45], v[158:159], v[44:45]
	v_add_f64_e32 v[26:27], v[26:27], v[38:39]
	;; [unrolled: 1-line block ×3, first 2 shown]
	v_mul_f64_e32 v[38:39], s[6:7], v[138:139]
	v_mul_f64_e32 v[36:37], s[6:7], v[144:145]
	v_add_f64_e64 v[42:43], v[42:43], -v[164:165]
	v_add_f64_e32 v[40:41], v[168:169], v[40:41]
	v_add_f64_e32 v[26:27], v[26:27], v[34:35]
	;; [unrolled: 1-line block ×3, first 2 shown]
	v_mul_f64_e32 v[34:35], s[16:17], v[138:139]
	v_add_f64_e64 v[38:39], v[38:39], -v[192:193]
	v_mul_f64_e32 v[32:33], s[16:17], v[144:145]
	v_add_f64_e32 v[36:37], v[196:197], v[36:37]
	v_add_f64_e32 v[22:23], v[26:27], v[22:23]
	;; [unrolled: 1-line block ×3, first 2 shown]
	v_mul_f64_e32 v[24:25], s[14:15], v[144:145]
	v_add_f64_e64 v[34:35], v[34:35], -v[244:245]
	v_add_f64_e32 v[64:65], v[28:29], v[38:39]
	v_add_f64_e32 v[38:39], v[28:29], v[42:43]
	;; [unrolled: 1-line block ×5, first 2 shown]
	v_mul_f64_e32 v[40:41], s[16:17], v[92:93]
	v_fma_f64 v[26:27], v[156:157], s[42:43], v[24:25]
	v_fma_f64 v[24:25], v[156:157], s[26:27], v[24:25]
	v_add_f64_e32 v[60:61], v[28:29], v[34:35]
	v_add_f64_e32 v[34:35], v[28:29], v[46:47]
	v_mul_f64_e32 v[28:29], s[10:11], v[82:83]
	v_add_f64_e32 v[58:59], v[30:31], v[32:33]
	v_add_f64_e32 v[32:33], v[30:31], v[44:45]
	v_fma_f64 v[42:43], v[118:119], s[34:35], v[40:41]
	v_fma_f64 v[40:41], v[118:119], s[28:29], v[40:41]
	v_add_f64_e32 v[26:27], v[30:31], v[26:27]
	v_add_f64_e32 v[56:57], v[30:31], v[24:25]
	v_mul_f64_e32 v[30:31], s[38:39], v[122:123]
	v_fma_f64 v[24:25], v[114:115], s[24:25], v[28:29]
	v_fma_f64 v[28:29], v[114:115], s[38:39], v[28:29]
	s_delay_alu instid0(VALU_DEP_2) | instskip(NEXT) | instid1(VALU_DEP_4)
	v_add_f64_e32 v[24:25], v[24:25], v[26:27]
	v_fma_f64 v[26:27], v[80:81], s[10:11], v[30:31]
	s_delay_alu instid0(VALU_DEP_3)
	v_add_f64_e32 v[28:29], v[28:29], v[56:57]
	v_fma_f64 v[30:31], v[80:81], s[10:11], -v[30:31]
	v_mul_f64_e32 v[56:57], s[12:13], v[108:109]
	v_add_f64_e32 v[24:25], v[42:43], v[24:25]
	v_mul_f64_e32 v[42:43], s[28:29], v[128:129]
	v_add_f64_e32 v[26:27], v[26:27], v[52:53]
	v_add_f64_e32 v[30:31], v[30:31], v[50:51]
	;; [unrolled: 1-line block ×3, first 2 shown]
	v_mul_f64_e32 v[50:51], s[16:17], v[98:99]
	v_add_f64_e32 v[56:57], v[188:189], v[56:57]
	v_fma_f64 v[44:45], v[88:89], s[16:17], v[42:43]
	v_fma_f64 v[40:41], v[88:89], s[16:17], -v[42:43]
	v_fma_f64 v[42:43], v[178:179], s[12:13], -v[70:71]
	v_add_f64_e32 v[50:51], v[170:171], v[50:51]
	s_delay_alu instid0(VALU_DEP_4) | instskip(SKIP_2) | instid1(VALU_DEP_2)
	v_add_f64_e32 v[26:27], v[44:45], v[26:27]
	v_mul_f64_e32 v[44:45], s[2:3], v[98:99]
	v_add_f64_e32 v[30:31], v[40:41], v[30:31]
	v_fma_f64 v[46:47], v[126:127], s[20:21], v[44:45]
	v_fma_f64 v[44:45], v[126:127], s[40:41], v[44:45]
	s_delay_alu instid0(VALU_DEP_2) | instskip(SKIP_1) | instid1(VALU_DEP_3)
	v_add_f64_e32 v[24:25], v[46:47], v[24:25]
	v_mul_f64_e32 v[46:47], s[40:41], v[142:143]
	v_add_f64_e32 v[28:29], v[44:45], v[28:29]
	v_mul_f64_e32 v[44:45], s[14:15], v[92:93]
	s_delay_alu instid0(VALU_DEP_3) | instskip(SKIP_2) | instid1(VALU_DEP_4)
	v_fma_f64 v[52:53], v[96:97], s[2:3], v[46:47]
	v_fma_f64 v[40:41], v[96:97], s[2:3], -v[46:47]
	v_mul_f64_e32 v[46:47], s[14:15], v[88:89]
	v_add_f64_e32 v[44:45], v[146:147], v[44:45]
	s_delay_alu instid0(VALU_DEP_4) | instskip(SKIP_3) | instid1(VALU_DEP_3)
	v_add_f64_e32 v[26:27], v[52:53], v[26:27]
	v_mul_f64_e32 v[52:53], s[6:7], v[108:109]
	v_add_f64_e32 v[30:31], v[40:41], v[30:31]
	v_add_f64_e64 v[46:47], v[46:47], -v[120:121]
	v_fma_f64 v[66:67], v[176:177], s[30:31], v[52:53]
	v_fma_f64 v[52:53], v[176:177], s[18:19], v[52:53]
	s_delay_alu instid0(VALU_DEP_2) | instskip(SKIP_1) | instid1(VALU_DEP_3)
	v_add_f64_e32 v[24:25], v[66:67], v[24:25]
	v_mul_f64_e32 v[66:67], s[18:19], v[184:185]
	v_add_f64_e32 v[28:29], v[52:53], v[28:29]
	v_mul_f64_e32 v[52:53], s[16:17], v[96:97]
	s_delay_alu instid0(VALU_DEP_3) | instskip(SKIP_1) | instid1(VALU_DEP_3)
	v_fma_f64 v[68:69], v[104:105], s[6:7], v[66:67]
	v_fma_f64 v[40:41], v[104:105], s[6:7], -v[66:67]
	v_add_f64_e64 v[52:53], v[52:53], -v[166:167]
	s_delay_alu instid0(VALU_DEP_3) | instskip(SKIP_1) | instid1(VALU_DEP_4)
	v_add_f64_e32 v[68:69], v[68:69], v[26:27]
	v_fma_f64 v[26:27], v[194:195], s[22:23], v[73:74]
	v_add_f64_e32 v[40:41], v[40:41], v[30:31]
	s_delay_alu instid0(VALU_DEP_2) | instskip(SKIP_1) | instid1(VALU_DEP_1)
	v_add_f64_e32 v[26:27], v[26:27], v[24:25]
	v_fma_f64 v[24:25], v[178:179], s[12:13], v[70:71]
	v_add_f64_e32 v[24:25], v[24:25], v[68:69]
	v_fma_f64 v[68:69], v[194:195], s[36:37], v[73:74]
	s_delay_alu instid0(VALU_DEP_1) | instskip(SKIP_3) | instid1(VALU_DEP_2)
	v_add_f64_e32 v[30:31], v[68:69], v[28:29]
	v_add_f64_e32 v[28:29], v[42:43], v[40:41]
	v_mul_f64_e32 v[40:41], s[6:7], v[82:83]
	v_mul_f64_e32 v[42:43], s[6:7], v[80:81]
	v_add_f64_e32 v[40:41], v[116:117], v[40:41]
	s_delay_alu instid0(VALU_DEP_2) | instskip(NEXT) | instid1(VALU_DEP_2)
	v_add_f64_e64 v[42:43], v[42:43], -v[112:113]
	v_add_f64_e32 v[32:33], v[40:41], v[32:33]
	s_delay_alu instid0(VALU_DEP_2) | instskip(SKIP_2) | instid1(VALU_DEP_4)
	v_add_f64_e32 v[34:35], v[42:43], v[34:35]
	v_mul_f64_e32 v[40:41], s[12:13], v[104:105]
	v_mul_f64_e32 v[42:43], s[10:11], v[186:187]
	v_add_f64_e32 v[32:33], v[44:45], v[32:33]
	s_delay_alu instid0(VALU_DEP_4) | instskip(NEXT) | instid1(VALU_DEP_4)
	v_add_f64_e32 v[34:35], v[46:47], v[34:35]
	v_add_f64_e64 v[40:41], v[40:41], -v[180:181]
	v_mul_f64_e32 v[44:45], s[10:11], v[178:179]
	v_add_f64_e32 v[42:43], v[228:229], v[42:43]
	v_mul_f64_e32 v[46:47], s[6:7], v[88:89]
	v_add_f64_e32 v[32:33], v[50:51], v[32:33]
	v_add_f64_e32 v[34:35], v[52:53], v[34:35]
	v_mul_f64_e32 v[50:51], s[10:11], v[98:99]
	v_add_f64_e64 v[44:45], v[44:45], -v[222:223]
	v_mul_f64_e32 v[52:53], s[10:11], v[96:97]
	v_add_f64_e64 v[46:47], v[46:47], -v[150:151]
	v_add_f64_e32 v[32:33], v[56:57], v[32:33]
	v_add_f64_e32 v[40:41], v[40:41], v[34:35]
	;; [unrolled: 1-line block ×3, first 2 shown]
	v_mul_f64_e32 v[56:57], s[2:3], v[108:109]
	v_add_f64_e64 v[52:53], v[52:53], -v[172:173]
	v_add_f64_e32 v[34:35], v[42:43], v[32:33]
	v_add_f64_e32 v[32:33], v[44:45], v[40:41]
	v_mul_f64_e32 v[40:41], s[14:15], v[82:83]
	v_mul_f64_e32 v[42:43], s[14:15], v[80:81]
	;; [unrolled: 1-line block ×3, first 2 shown]
	v_add_f64_e32 v[56:57], v[212:213], v[56:57]
	s_delay_alu instid0(VALU_DEP_4) | instskip(NEXT) | instid1(VALU_DEP_4)
	v_add_f64_e32 v[40:41], v[132:133], v[40:41]
	v_add_f64_e64 v[42:43], v[42:43], -v[124:125]
	s_delay_alu instid0(VALU_DEP_4) | instskip(NEXT) | instid1(VALU_DEP_3)
	v_add_f64_e32 v[44:45], v[152:153], v[44:45]
	v_add_f64_e32 v[36:37], v[40:41], v[36:37]
	s_delay_alu instid0(VALU_DEP_3) | instskip(SKIP_2) | instid1(VALU_DEP_4)
	v_add_f64_e32 v[38:39], v[42:43], v[38:39]
	v_mul_f64_e32 v[40:41], s[2:3], v[104:105]
	v_mul_f64_e32 v[42:43], s[16:17], v[186:187]
	v_add_f64_e32 v[36:37], v[44:45], v[36:37]
	s_delay_alu instid0(VALU_DEP_4) | instskip(NEXT) | instid1(VALU_DEP_4)
	v_add_f64_e32 v[38:39], v[46:47], v[38:39]
	v_add_f64_e64 v[40:41], v[40:41], -v[210:211]
	v_mul_f64_e32 v[44:45], s[16:17], v[178:179]
	v_add_f64_e32 v[42:43], v[230:231], v[42:43]
	v_mul_f64_e32 v[46:47], s[10:11], v[88:89]
	v_add_f64_e32 v[36:37], v[50:51], v[36:37]
	v_add_f64_e32 v[38:39], v[52:53], v[38:39]
	v_mul_f64_e32 v[50:51], s[12:13], v[98:99]
	v_add_f64_e64 v[44:45], v[44:45], -v[224:225]
	v_mul_f64_e32 v[52:53], s[12:13], v[96:97]
	v_add_f64_e64 v[46:47], v[46:47], -v[160:161]
	v_add_f64_e32 v[36:37], v[56:57], v[36:37]
	v_add_f64_e32 v[40:41], v[40:41], v[38:39]
	;; [unrolled: 1-line block ×3, first 2 shown]
	v_mul_f64_e32 v[56:57], s[14:15], v[108:109]
	v_add_f64_e64 v[52:53], v[52:53], -v[202:203]
	v_add_f64_e32 v[38:39], v[42:43], v[36:37]
	v_add_f64_e32 v[36:37], v[44:45], v[40:41]
	v_mul_f64_e32 v[40:41], s[16:17], v[82:83]
	v_mul_f64_e32 v[42:43], s[16:17], v[80:81]
	;; [unrolled: 1-line block ×3, first 2 shown]
	v_add_f64_e32 v[56:57], v[216:217], v[56:57]
	s_delay_alu instid0(VALU_DEP_4) | instskip(NEXT) | instid1(VALU_DEP_4)
	v_add_f64_e32 v[40:41], v[136:137], v[40:41]
	v_add_f64_e64 v[42:43], v[42:43], -v[130:131]
	s_delay_alu instid0(VALU_DEP_4) | instskip(NEXT) | instid1(VALU_DEP_3)
	v_add_f64_e32 v[44:45], v[162:163], v[44:45]
	v_add_f64_e32 v[40:41], v[40:41], v[62:63]
	s_delay_alu instid0(VALU_DEP_3) | instskip(SKIP_2) | instid1(VALU_DEP_4)
	v_add_f64_e32 v[42:43], v[42:43], v[64:65]
	v_mul_f64_e32 v[62:63], s[14:15], v[104:105]
	v_mul_f64_e32 v[64:65], s[10:11], v[108:109]
	v_add_f64_e32 v[40:41], v[44:45], v[40:41]
	s_delay_alu instid0(VALU_DEP_4) | instskip(NEXT) | instid1(VALU_DEP_4)
	v_add_f64_e32 v[42:43], v[46:47], v[42:43]
	v_add_f64_e64 v[62:63], v[62:63], -v[214:215]
	v_mul_f64_e32 v[44:45], s[2:3], v[186:187]
	v_mul_f64_e32 v[46:47], s[2:3], v[178:179]
	v_add_f64_e32 v[64:65], v[240:241], v[64:65]
	v_add_f64_e32 v[40:41], v[50:51], v[40:41]
	;; [unrolled: 1-line block ×3, first 2 shown]
	v_mul_f64_e32 v[52:53], s[2:3], v[88:89]
	v_add_f64_e32 v[44:45], v[236:237], v[44:45]
	v_add_f64_e64 v[46:47], v[46:47], -v[226:227]
	v_add_f64_e32 v[40:41], v[56:57], v[40:41]
	v_add_f64_e32 v[50:51], v[62:63], v[42:43]
	v_add_f64_e64 v[52:53], v[52:53], -v[208:209]
	v_mul_f64_e32 v[56:57], s[14:15], v[98:99]
	v_mul_f64_e32 v[62:63], s[14:15], v[96:97]
	v_add_f64_e32 v[42:43], v[44:45], v[40:41]
	v_add_f64_e32 v[40:41], v[46:47], v[50:51]
	v_mul_f64_e32 v[44:45], s[12:13], v[82:83]
	v_mul_f64_e32 v[46:47], s[12:13], v[80:81]
	v_mul_f64_e32 v[50:51], s[2:3], v[92:93]
	v_add_f64_e32 v[56:57], v[234:235], v[56:57]
	v_add_f64_e64 v[62:63], v[62:63], -v[220:221]
	v_add_f64_e32 v[44:45], v[206:207], v[44:45]
	v_add_f64_e64 v[46:47], v[46:47], -v[200:201]
	v_add_f64_e32 v[50:51], v[218:219], v[50:51]
	s_delay_alu instid0(VALU_DEP_3) | instskip(NEXT) | instid1(VALU_DEP_3)
	v_add_f64_e32 v[44:45], v[44:45], v[58:59]
	v_add_f64_e32 v[46:47], v[46:47], v[60:61]
	v_mul_f64_e32 v[58:59], s[10:11], v[104:105]
	v_mul_f64_e32 v[60:61], s[6:7], v[98:99]
	s_delay_alu instid0(VALU_DEP_4) | instskip(NEXT) | instid1(VALU_DEP_4)
	v_add_f64_e32 v[44:45], v[50:51], v[44:45]
	v_add_f64_e32 v[46:47], v[52:53], v[46:47]
	s_delay_alu instid0(VALU_DEP_4)
	v_add_f64_e64 v[58:59], v[58:59], -v[232:233]
	v_mul_f64_e32 v[50:51], s[6:7], v[186:187]
	v_mul_f64_e32 v[52:53], s[6:7], v[178:179]
	v_add_f64_e32 v[60:61], v[102:103], v[60:61]
	v_add_f64_e32 v[44:45], v[56:57], v[44:45]
	;; [unrolled: 1-line block ×3, first 2 shown]
	v_mul_f64_e32 v[62:63], s[6:7], v[96:97]
	v_add_f64_e32 v[50:51], v[242:243], v[50:51]
	v_add_f64_e64 v[52:53], v[52:53], -v[238:239]
	v_add_f64_e32 v[44:45], v[64:65], v[44:45]
	v_add_f64_e32 v[56:57], v[58:59], v[46:47]
	v_mul_f64_e32 v[58:59], s[12:13], v[88:89]
	v_add_f64_e64 v[62:63], v[62:63], -v[100:101]
	v_mul_f64_e32 v[64:65], s[16:17], v[108:109]
	v_add_f64_e32 v[46:47], v[50:51], v[44:45]
	v_add_f64_e32 v[44:45], v[52:53], v[56:57]
	scratch_load_b64 v[56:57], off, off offset:24 th:TH_LOAD_LU ; 8-byte Folded Reload
	v_mul_f64_e32 v[50:51], s[2:3], v[82:83]
	v_mul_f64_e32 v[52:53], s[2:3], v[80:81]
	v_add_f64_e64 v[58:59], v[58:59], -v[90:91]
	v_add_f64_e32 v[64:65], v[110:111], v[64:65]
	s_delay_alu instid0(VALU_DEP_4) | instskip(NEXT) | instid1(VALU_DEP_1)
	v_add_f64_e32 v[50:51], v[86:87], v[50:51]
	v_add_f64_e32 v[48:49], v[50:51], v[48:49]
	s_wait_loadcnt 0x0
	v_add_f64_e64 v[52:53], v[52:53], -v[56:57]
	v_mul_f64_e32 v[56:57], s[12:13], v[92:93]
	s_delay_alu instid0(VALU_DEP_2) | instskip(NEXT) | instid1(VALU_DEP_2)
	v_add_f64_e32 v[50:51], v[52:53], v[54:55]
	v_add_f64_e32 v[56:57], v[94:95], v[56:57]
	v_mul_f64_e32 v[52:53], s[16:17], v[104:105]
	v_mul_f64_e32 v[54:55], s[14:15], v[186:187]
	s_delay_alu instid0(VALU_DEP_4) | instskip(NEXT) | instid1(VALU_DEP_4)
	v_add_f64_e32 v[50:51], v[58:59], v[50:51]
	v_add_f64_e32 v[48:49], v[56:57], v[48:49]
	s_delay_alu instid0(VALU_DEP_4) | instskip(SKIP_4) | instid1(VALU_DEP_4)
	v_add_f64_e64 v[52:53], v[52:53], -v[106:107]
	v_mul_f64_e32 v[56:57], s[14:15], v[178:179]
	v_add_f64_e32 v[54:55], v[190:191], v[54:55]
	v_add_f64_e32 v[50:51], v[62:63], v[50:51]
	;; [unrolled: 1-line block ×3, first 2 shown]
	v_add_f64_e64 v[56:57], v[56:57], -v[182:183]
	s_delay_alu instid0(VALU_DEP_3) | instskip(NEXT) | instid1(VALU_DEP_3)
	v_add_f64_e32 v[52:53], v[52:53], v[50:51]
	v_add_f64_e32 v[48:49], v[64:65], v[48:49]
	s_delay_alu instid0(VALU_DEP_1) | instskip(NEXT) | instid1(VALU_DEP_3)
	v_add_f64_e32 v[50:51], v[54:55], v[48:49]
	v_add_f64_e32 v[48:49], v[56:57], v[52:53]
	v_mad_u32_u24 v52, 0xc0, v72, v248
	ds_store_b128 v52, v[32:35] offset:32
	ds_store_b128 v52, v[36:39] offset:48
	;; [unrolled: 1-line block ×11, first 2 shown]
	ds_store_b128 v52, v[20:23]
	ds_store_b128 v52, v[4:7] offset:192
.LBB0_19:
	s_wait_alu 0xfffe
	s_or_b32 exec_lo, exec_lo, s1
	v_and_b32_e32 v20, 0xff, v72
	v_add_nc_u32_e32 v56, 0xb6, v72
	global_wb scope:SCOPE_SE
	s_wait_dscnt 0x0
	s_barrier_signal -1
	s_barrier_wait -1
	v_mul_lo_u16 v58, 0x4f, v20
	v_and_b32_e32 v20, 0xffff, v56
	global_inv scope:SCOPE_SE
	v_cmp_gt_u32_e64 s0, 26, v72
	v_lshrrev_b16 v71, 10, v58
	v_mul_u32_u24_e32 v57, 0x4ec5, v20
	s_delay_alu instid0(VALU_DEP_2) | instskip(NEXT) | instid1(VALU_DEP_2)
	v_mul_lo_u16 v20, v71, 13
	v_lshrrev_b32_e32 v85, 18, v57
	s_delay_alu instid0(VALU_DEP_2) | instskip(NEXT) | instid1(VALU_DEP_2)
	v_sub_nc_u16 v20, v72, v20
	v_mul_lo_u16 v21, v85, 13
	s_delay_alu instid0(VALU_DEP_2) | instskip(NEXT) | instid1(VALU_DEP_2)
	v_and_b32_e32 v86, 0xff, v20
	v_sub_nc_u16 v20, v56, v21
	s_delay_alu instid0(VALU_DEP_2) | instskip(NEXT) | instid1(VALU_DEP_2)
	v_mul_u32_u24_e32 v21, 3, v86
	v_and_b32_e32 v87, 0xffff, v20
	s_delay_alu instid0(VALU_DEP_2) | instskip(NEXT) | instid1(VALU_DEP_2)
	v_lshlrev_b32_e32 v28, 4, v21
	v_mul_u32_u24_e32 v24, 3, v87
	global_load_b128 v[20:23], v28, s[4:5]
	v_lshlrev_b32_e32 v40, 4, v24
	s_clause 0x4
	global_load_b128 v[24:27], v28, s[4:5] offset:16
	global_load_b128 v[28:31], v28, s[4:5] offset:32
	global_load_b128 v[32:35], v40, s[4:5]
	global_load_b128 v[36:39], v40, s[4:5] offset:16
	global_load_b128 v[40:43], v40, s[4:5] offset:32
	ds_load_b128 v[44:47], v248 offset:5824
	ds_load_b128 v[48:51], v248 offset:11648
	;; [unrolled: 1-line block ×6, first 2 shown]
	s_wait_loadcnt_dscnt 0x404
	v_mul_f64_e32 v[75:76], v[50:51], v[26:27]
	v_mul_f64_e32 v[73:74], v[46:47], v[22:23]
	;; [unrolled: 1-line block ×4, first 2 shown]
	s_wait_loadcnt_dscnt 0x303
	v_mul_f64_e32 v[77:78], v[54:55], v[30:31]
	v_mul_f64_e32 v[30:31], v[52:53], v[30:31]
	s_wait_loadcnt_dscnt 0x202
	v_mul_f64_e32 v[79:80], v[61:62], v[34:35]
	v_mul_f64_e32 v[34:35], v[59:60], v[34:35]
	;; [unrolled: 3-line block ×4, first 2 shown]
	v_fma_f64 v[48:49], v[48:49], v[24:25], -v[75:76]
	v_fma_f64 v[44:45], v[44:45], v[20:21], -v[73:74]
	v_fma_f64 v[46:47], v[46:47], v[20:21], v[22:23]
	v_fma_f64 v[50:51], v[50:51], v[24:25], v[26:27]
	v_fma_f64 v[52:53], v[52:53], v[28:29], -v[77:78]
	v_fma_f64 v[28:29], v[54:55], v[28:29], v[30:31]
	v_fma_f64 v[30:31], v[59:60], v[32:33], -v[79:80]
	;; [unrolled: 2-line block ×4, first 2 shown]
	v_fma_f64 v[40:41], v[69:70], v[40:41], v[42:43]
	ds_load_b128 v[20:23], v248
	ds_load_b128 v[24:27], v248 offset:2912
	global_wb scope:SCOPE_SE
	s_wait_dscnt 0x0
	s_barrier_signal -1
	s_barrier_wait -1
	global_inv scope:SCOPE_SE
	v_add_f64_e64 v[42:43], v[20:21], -v[48:49]
	v_add_f64_e64 v[48:49], v[22:23], -v[50:51]
	;; [unrolled: 1-line block ×8, first 2 shown]
	v_fma_f64 v[38:39], v[20:21], 2.0, -v[42:43]
	v_fma_f64 v[59:60], v[22:23], 2.0, -v[48:49]
	;; [unrolled: 1-line block ×8, first 2 shown]
	v_add_f64_e64 v[24:25], v[42:43], -v[28:29]
	v_add_f64_e32 v[26:27], v[48:49], v[50:51]
	v_add_f64_e64 v[28:29], v[38:39], -v[20:21]
	v_add_f64_e64 v[30:31], v[59:60], -v[22:23]
	;; [unrolled: 1-line block ×3, first 2 shown]
	v_add_f64_e32 v[22:23], v[54:55], v[36:37]
	v_add_f64_e64 v[32:33], v[46:47], -v[40:41]
	v_add_f64_e64 v[34:35], v[61:62], -v[44:45]
	v_fma_f64 v[36:37], v[42:43], 2.0, -v[24:25]
	v_fma_f64 v[40:41], v[38:39], 2.0, -v[28:29]
	;; [unrolled: 1-line block ×5, first 2 shown]
	v_and_b32_e32 v52, 0xffff, v71
	v_mul_u32_u24_e32 v53, 0x340, v85
	v_fma_f64 v[48:49], v[46:47], 2.0, -v[32:33]
	v_fma_f64 v[50:51], v[61:62], 2.0, -v[34:35]
	;; [unrolled: 1-line block ×3, first 2 shown]
	v_mul_u32_u24_e32 v52, 0x340, v52
	v_lshlrev_b32_e32 v54, 4, v86
	v_lshlrev_b32_e32 v55, 4, v87
	s_delay_alu instid0(VALU_DEP_2) | instskip(NEXT) | instid1(VALU_DEP_2)
	v_add3_u32 v52, 0, v52, v54
	v_add3_u32 v53, 0, v53, v55
	ds_store_b128 v52, v[28:31] offset:416
	ds_store_b128 v52, v[24:27] offset:624
	ds_store_b128 v52, v[40:43]
	ds_store_b128 v52, v[36:39] offset:208
	ds_store_b128 v53, v[32:35] offset:416
	;; [unrolled: 1-line block ×3, first 2 shown]
	ds_store_b128 v53, v[48:51]
	ds_store_b128 v53, v[44:47] offset:208
	global_wb scope:SCOPE_SE
	s_wait_dscnt 0x0
	s_barrier_signal -1
	s_barrier_wait -1
	global_inv scope:SCOPE_SE
	ds_load_b128 v[28:31], v248
	ds_load_b128 v[48:51], v248 offset:3328
	ds_load_b128 v[44:47], v248 offset:6656
	;; [unrolled: 1-line block ×6, first 2 shown]
                                        ; implicit-def: $vgpr26_vgpr27
	s_and_saveexec_b32 s1, s0
	s_cbranch_execz .LBB0_21
; %bb.20:
	ds_load_b128 v[20:23], v248 offset:2912
	ds_load_b128 v[16:19], v248 offset:6240
	;; [unrolled: 1-line block ×7, first 2 shown]
.LBB0_21:
	s_wait_alu 0xfffe
	s_or_b32 exec_lo, exec_lo, s1
	v_lshrrev_b16 v79, 12, v58
	s_mov_b32 s6, 0x37e14327
	s_mov_b32 s10, 0xe976ee23
	;; [unrolled: 1-line block ×4, first 2 shown]
	v_mul_lo_u16 v58, v79, 52
	s_mov_b32 s2, 0x429ad128
	s_mov_b32 s3, 0x3febfeb5
	;; [unrolled: 1-line block ×4, first 2 shown]
	v_sub_nc_u16 v58, v72, v58
	s_mov_b32 s12, 0xaaaaaaaa
	s_mov_b32 s20, 0xb247c609
	;; [unrolled: 1-line block ×4, first 2 shown]
	v_and_b32_e32 v96, 0xff, v58
	s_mov_b32 s21, 0x3fd5d0dc
	s_mov_b32 s15, 0x3fe77f67
	;; [unrolled: 1-line block ×4, first 2 shown]
	v_mul_u32_u24_e32 v58, 6, v96
	s_wait_alu 0xfffe
	s_mov_b32 s18, s14
	s_mov_b32 s22, s20
	;; [unrolled: 1-line block ×4, first 2 shown]
	v_lshlrev_b32_e32 v70, 4, v58
	s_clause 0x5
	global_load_b128 v[58:61], v70, s[4:5] offset:624
	global_load_b128 v[62:65], v70, s[4:5] offset:640
	;; [unrolled: 1-line block ×6, first 2 shown]
	global_wb scope:SCOPE_SE
	s_wait_loadcnt_dscnt 0x0
	s_barrier_signal -1
	s_barrier_wait -1
	global_inv scope:SCOPE_SE
	v_mul_f64_e32 v[70:71], v[50:51], v[60:61]
	v_mul_f64_e32 v[60:61], v[48:49], v[60:61]
	;; [unrolled: 1-line block ×12, first 2 shown]
	v_fma_f64 v[48:49], v[48:49], v[58:59], -v[70:71]
	v_fma_f64 v[50:51], v[50:51], v[58:59], v[60:61]
	v_fma_f64 v[44:45], v[44:45], v[62:63], -v[73:74]
	v_fma_f64 v[46:47], v[46:47], v[62:63], v[64:65]
	;; [unrolled: 2-line block ×6, first 2 shown]
	v_add_f64_e32 v[58:59], v[48:49], v[52:53]
	v_add_f64_e32 v[60:61], v[50:51], v[54:55]
	;; [unrolled: 1-line block ×4, first 2 shown]
	v_add_f64_e64 v[40:41], v[44:45], -v[40:41]
	v_add_f64_e64 v[42:43], v[46:47], -v[42:43]
	v_add_f64_e32 v[44:45], v[36:37], v[32:33]
	v_add_f64_e32 v[46:47], v[38:39], v[34:35]
	v_add_f64_e64 v[32:33], v[32:33], -v[36:37]
	v_add_f64_e64 v[34:35], v[34:35], -v[38:39]
	;; [unrolled: 1-line block ×4, first 2 shown]
	v_add_f64_e32 v[48:49], v[62:63], v[58:59]
	v_add_f64_e32 v[50:51], v[64:65], v[60:61]
	v_add_f64_e64 v[52:53], v[58:59], -v[44:45]
	v_add_f64_e64 v[54:55], v[60:61], -v[46:47]
	;; [unrolled: 1-line block ×6, first 2 shown]
	v_add_f64_e32 v[40:41], v[32:33], v[40:41]
	v_add_f64_e32 v[42:43], v[34:35], v[42:43]
	v_add_f64_e64 v[32:33], v[36:37], -v[32:33]
	v_add_f64_e64 v[34:35], v[38:39], -v[34:35]
	;; [unrolled: 1-line block ×4, first 2 shown]
	v_add_f64_e32 v[48:49], v[44:45], v[48:49]
	v_add_f64_e32 v[50:51], v[46:47], v[50:51]
	v_add_f64_e64 v[44:45], v[44:45], -v[62:63]
	v_add_f64_e64 v[46:47], v[46:47], -v[64:65]
	v_mul_f64_e32 v[52:53], s[6:7], v[52:53]
	v_mul_f64_e32 v[54:55], s[6:7], v[54:55]
	;; [unrolled: 1-line block ×6, first 2 shown]
	v_add_f64_e32 v[36:37], v[40:41], v[36:37]
	v_add_f64_e32 v[38:39], v[42:43], v[38:39]
	v_add_f64_e32 v[28:29], v[28:29], v[48:49]
	v_add_f64_e32 v[30:31], v[30:31], v[50:51]
	v_mul_f64_e32 v[62:63], s[16:17], v[44:45]
	v_mul_f64_e32 v[64:65], s[16:17], v[46:47]
	v_fma_f64 v[40:41], v[44:45], s[16:17], v[52:53]
	v_fma_f64 v[42:43], v[46:47], s[16:17], v[54:55]
	;; [unrolled: 1-line block ×4, first 2 shown]
	v_fma_f64 v[66:67], v[70:71], s[2:3], -v[66:67]
	v_fma_f64 v[68:69], v[73:74], s[2:3], -v[68:69]
	s_wait_alu 0xfffe
	v_fma_f64 v[32:33], v[32:33], s[22:23], -v[75:76]
	v_fma_f64 v[34:35], v[34:35], s[22:23], -v[77:78]
	;; [unrolled: 1-line block ×4, first 2 shown]
	v_fma_f64 v[48:49], v[48:49], s[12:13], v[28:29]
	v_fma_f64 v[50:51], v[50:51], s[12:13], v[30:31]
	v_fma_f64 v[58:59], v[58:59], s[14:15], -v[62:63]
	v_fma_f64 v[60:61], v[60:61], s[14:15], -v[64:65]
	v_fma_f64 v[62:63], v[36:37], s[24:25], v[44:45]
	v_fma_f64 v[64:65], v[38:39], s[24:25], v[46:47]
	;; [unrolled: 1-line block ×6, first 2 shown]
	v_add_f64_e32 v[70:71], v[40:41], v[48:49]
	v_add_f64_e32 v[73:74], v[42:43], v[50:51]
	;; [unrolled: 1-line block ×6, first 2 shown]
	v_and_b32_e32 v58, 0xffff, v79
	v_lshlrev_b32_e32 v59, 4, v96
	s_delay_alu instid0(VALU_DEP_2) | instskip(NEXT) | instid1(VALU_DEP_1)
	v_mul_u32_u24_e32 v58, 0x16c0, v58
	v_add3_u32 v58, 0, v58, v59
	v_add_f64_e32 v[32:33], v[64:65], v[70:71]
	v_add_f64_e64 v[34:35], v[73:74], -v[62:63]
	v_add_f64_e32 v[36:37], v[68:69], v[52:53]
	v_add_f64_e64 v[38:39], v[54:55], -v[66:67]
	v_add_f64_e64 v[40:41], v[48:49], -v[44:45]
	v_add_f64_e32 v[42:43], v[46:47], v[50:51]
	v_add_f64_e32 v[44:45], v[44:45], v[48:49]
	v_add_f64_e64 v[46:47], v[50:51], -v[46:47]
	v_add_f64_e64 v[48:49], v[52:53], -v[68:69]
	v_add_f64_e32 v[50:51], v[66:67], v[54:55]
	v_add_f64_e64 v[52:53], v[70:71], -v[64:65]
	v_add_f64_e32 v[54:55], v[62:63], v[73:74]
	ds_store_b128 v58, v[28:31]
	ds_store_b128 v58, v[32:35] offset:832
	ds_store_b128 v58, v[36:39] offset:1664
	;; [unrolled: 1-line block ×6, first 2 shown]
	s_and_saveexec_b32 s1, s0
	s_cbranch_execz .LBB0_23
; %bb.22:
	v_lshrrev_b32_e32 v28, 20, v57
	s_delay_alu instid0(VALU_DEP_1) | instskip(NEXT) | instid1(VALU_DEP_1)
	v_mul_lo_u16 v28, v28, 52
	v_sub_nc_u16 v28, v56, v28
	s_delay_alu instid0(VALU_DEP_1) | instskip(NEXT) | instid1(VALU_DEP_1)
	v_and_b32_e32 v64, 0xffff, v28
	v_mul_u32_u24_e32 v28, 6, v64
	s_delay_alu instid0(VALU_DEP_1)
	v_lshlrev_b32_e32 v48, 4, v28
	s_clause 0x5
	global_load_b128 v[28:31], v48, s[4:5] offset:640
	global_load_b128 v[32:35], v48, s[4:5] offset:688
	;; [unrolled: 1-line block ×6, first 2 shown]
	s_wait_loadcnt 0x5
	v_mul_f64_e32 v[52:53], v[12:13], v[30:31]
	s_wait_loadcnt 0x4
	v_mul_f64_e32 v[54:55], v[4:5], v[34:35]
	s_wait_loadcnt 0x3
	v_mul_f64_e32 v[56:57], v[16:17], v[38:39]
	s_wait_loadcnt 0x2
	v_mul_f64_e32 v[58:59], v[24:25], v[42:43]
	v_mul_f64_e32 v[30:31], v[14:15], v[30:31]
	v_mul_f64_e32 v[34:35], v[6:7], v[34:35]
	;; [unrolled: 1-line block ×4, first 2 shown]
	s_wait_loadcnt 0x1
	v_mul_f64_e32 v[60:61], v[2:3], v[46:47]
	s_wait_loadcnt 0x0
	v_mul_f64_e32 v[62:63], v[10:11], v[50:51]
	v_mul_f64_e32 v[50:51], v[8:9], v[50:51]
	;; [unrolled: 1-line block ×3, first 2 shown]
	v_fma_f64 v[14:15], v[14:15], v[28:29], v[52:53]
	v_fma_f64 v[6:7], v[6:7], v[32:33], v[54:55]
	;; [unrolled: 1-line block ×4, first 2 shown]
	v_fma_f64 v[12:13], v[12:13], v[28:29], -v[30:31]
	v_fma_f64 v[4:5], v[4:5], v[32:33], -v[34:35]
	;; [unrolled: 1-line block ×6, first 2 shown]
	v_fma_f64 v[10:11], v[10:11], v[48:49], v[50:51]
	v_fma_f64 v[2:3], v[2:3], v[44:45], v[46:47]
	v_add_f64_e32 v[28:29], v[14:15], v[6:7]
	v_add_f64_e64 v[6:7], v[14:15], -v[6:7]
	v_add_f64_e32 v[30:31], v[18:19], v[26:27]
	v_add_f64_e32 v[32:33], v[12:13], v[4:5]
	v_add_f64_e64 v[4:5], v[12:13], -v[4:5]
	v_add_f64_e32 v[34:35], v[16:17], v[24:25]
	v_add_f64_e64 v[36:37], v[0:1], -v[8:9]
	v_add_f64_e32 v[0:1], v[8:9], v[0:1]
	v_add_f64_e32 v[12:13], v[10:11], v[2:3]
	v_add_f64_e64 v[8:9], v[16:17], -v[24:25]
	v_add_f64_e64 v[2:3], v[2:3], -v[10:11]
	;; [unrolled: 1-line block ×3, first 2 shown]
	v_add_f64_e32 v[16:17], v[28:29], v[30:31]
	v_add_f64_e32 v[14:15], v[32:33], v[34:35]
	v_add_f64_e64 v[18:19], v[36:37], -v[4:5]
	v_add_f64_e64 v[26:27], v[34:35], -v[0:1]
	;; [unrolled: 1-line block ×7, first 2 shown]
	v_add_f64_e32 v[4:5], v[36:37], v[4:5]
	v_add_f64_e64 v[36:37], v[8:9], -v[36:37]
	v_add_f64_e32 v[6:7], v[2:3], v[6:7]
	v_add_f64_e64 v[48:49], v[10:11], -v[2:3]
	;; [unrolled: 2-line block ×3, first 2 shown]
	v_add_f64_e32 v[14:15], v[0:1], v[14:15]
	v_mul_f64_e32 v[18:19], s[10:11], v[18:19]
	v_mul_f64_e32 v[26:27], s[6:7], v[26:27]
	;; [unrolled: 1-line block ×4, first 2 shown]
	v_add_f64_e32 v[4:5], v[4:5], v[8:9]
	v_add_f64_e32 v[6:7], v[6:7], v[10:11]
	;; [unrolled: 1-line block ×3, first 2 shown]
	v_add_f64_e64 v[22:23], v[28:29], -v[30:31]
	v_mul_f64_e32 v[28:29], s[16:17], v[12:13]
	v_mul_f64_e32 v[30:31], s[10:11], v[40:41]
	v_add_f64_e32 v[0:1], v[20:21], v[14:15]
	v_mul_f64_e32 v[40:41], s[2:3], v[42:43]
	v_add_f64_e64 v[20:21], v[32:33], -v[34:35]
	v_mul_f64_e32 v[32:33], s[16:17], v[44:45]
	v_fma_f64 v[8:9], v[36:37], s[20:21], v[18:19]
	v_fma_f64 v[10:11], v[12:13], s[16:17], v[24:25]
	;; [unrolled: 1-line block ×3, first 2 shown]
	v_fma_f64 v[34:35], v[36:37], s[22:23], -v[46:47]
	v_fma_f64 v[18:19], v[38:39], s[2:3], -v[18:19]
	v_fma_f64 v[16:17], v[16:17], s[12:13], v[2:3]
	v_fma_f64 v[24:25], v[22:23], s[18:19], -v[24:25]
	v_fma_f64 v[22:23], v[22:23], s[14:15], -v[28:29]
	v_fma_f64 v[28:29], v[48:49], s[20:21], v[30:31]
	v_fma_f64 v[14:15], v[14:15], s[12:13], v[0:1]
	v_fma_f64 v[36:37], v[48:49], s[22:23], -v[40:41]
	v_fma_f64 v[26:27], v[20:21], s[18:19], -v[26:27]
	;; [unrolled: 1-line block ×4, first 2 shown]
	v_fma_f64 v[8:9], v[4:5], s[24:25], v[8:9]
	v_fma_f64 v[32:33], v[4:5], s[24:25], v[34:35]
	;; [unrolled: 1-line block ×3, first 2 shown]
	v_add_f64_e32 v[34:35], v[10:11], v[16:17]
	v_add_f64_e32 v[24:25], v[24:25], v[16:17]
	;; [unrolled: 1-line block ×3, first 2 shown]
	v_fma_f64 v[28:29], v[6:7], s[24:25], v[28:29]
	v_add_f64_e32 v[38:39], v[12:13], v[14:15]
	v_fma_f64 v[36:37], v[6:7], s[24:25], v[36:37]
	v_add_f64_e32 v[40:41], v[26:27], v[14:15]
	;; [unrolled: 2-line block ×3, first 2 shown]
	v_add_f64_e64 v[26:27], v[34:35], -v[8:9]
	v_add_f64_e32 v[10:11], v[32:33], v[24:25]
	v_add_f64_e64 v[22:23], v[24:25], -v[32:33]
	v_add_f64_e64 v[14:15], v[16:17], -v[4:5]
	v_add_f64_e32 v[24:25], v[28:29], v[38:39]
	v_add_f64_e32 v[18:19], v[4:5], v[16:17]
	;; [unrolled: 1-line block ×4, first 2 shown]
	v_add_f64_e64 v[16:17], v[12:13], -v[30:31]
	v_add_f64_e32 v[12:13], v[30:31], v[12:13]
	v_add_f64_e64 v[8:9], v[40:41], -v[36:37]
	v_add_f64_e64 v[4:5], v[38:39], -v[28:29]
	v_lshl_add_u32 v28, v64, 4, 0
	ds_store_b128 v28, v[0:3] offset:17472
	ds_store_b128 v28, v[24:27] offset:18304
	;; [unrolled: 1-line block ×7, first 2 shown]
.LBB0_23:
	s_wait_alu 0xfffe
	s_or_b32 exec_lo, exec_lo, s1
	global_wb scope:SCOPE_SE
	s_wait_dscnt 0x0
	s_barrier_signal -1
	scratch_load_b64 v[0:1], off, off th:TH_LOAD_LU ; 8-byte Folded Reload
	s_wait_loadcnt 0x0
	v_add_co_u32 v32, s0, s4, v0
	s_wait_alu 0xf1ff
	v_add_co_ci_u32_e64 v33, s0, s5, v1, s0
	scratch_load_b64 v[0:1], off, off offset:16 th:TH_LOAD_LU ; 8-byte Folded Reload
	s_barrier_wait -1
	s_wait_loadcnt 0x0
	global_inv scope:SCOPE_SE
	v_add_co_u32 v34, s0, s4, v0
	s_wait_alu 0xf1ff
	v_add_co_ci_u32_e64 v35, s0, s5, v1, s0
	s_clause 0x1
	global_load_b128 v[0:3], v[32:33], off offset:5616
	global_load_b128 v[4:7], v[34:35], off offset:8528
	ds_load_b128 v[8:11], v248 offset:11648
	ds_load_b128 v[12:15], v248 offset:14560
	;; [unrolled: 1-line block ×4, first 2 shown]
	s_wait_loadcnt_dscnt 0x103
	v_mul_f64_e32 v[24:25], v[10:11], v[2:3]
	v_mul_f64_e32 v[26:27], v[8:9], v[2:3]
	s_wait_loadcnt_dscnt 0x2
	v_mul_f64_e32 v[28:29], v[14:15], v[6:7]
	v_mul_f64_e32 v[30:31], v[12:13], v[6:7]
	s_wait_dscnt 0x1
	v_mul_f64_e32 v[36:37], v[18:19], v[2:3]
	v_mul_f64_e32 v[2:3], v[16:17], v[2:3]
	s_wait_dscnt 0x0
	v_mul_f64_e32 v[38:39], v[22:23], v[6:7]
	v_mul_f64_e32 v[6:7], v[20:21], v[6:7]
	v_fma_f64 v[24:25], v[8:9], v[0:1], -v[24:25]
	v_fma_f64 v[26:27], v[10:11], v[0:1], v[26:27]
	v_fma_f64 v[28:29], v[12:13], v[4:5], -v[28:29]
	v_fma_f64 v[30:31], v[14:15], v[4:5], v[30:31]
	;; [unrolled: 2-line block ×4, first 2 shown]
	ds_load_b128 v[0:3], v248
	ds_load_b128 v[4:7], v248 offset:2912
	ds_load_b128 v[8:11], v248 offset:5824
	;; [unrolled: 1-line block ×3, first 2 shown]
	global_wb scope:SCOPE_SE
	s_wait_dscnt 0x0
	s_barrier_signal -1
	s_barrier_wait -1
	global_inv scope:SCOPE_SE
	v_add_f64_e64 v[16:17], v[0:1], -v[24:25]
	v_add_f64_e64 v[18:19], v[2:3], -v[26:27]
	;; [unrolled: 1-line block ×8, first 2 shown]
	v_fma_f64 v[0:1], v[0:1], 2.0, -v[16:17]
	v_fma_f64 v[2:3], v[2:3], 2.0, -v[18:19]
	;; [unrolled: 1-line block ×8, first 2 shown]
	ds_store_b128 v248, v[16:19] offset:5824
	ds_store_b128 v248, v[20:23] offset:8736
	;; [unrolled: 1-line block ×4, first 2 shown]
	ds_store_b128 v248, v[0:3]
	ds_store_b128 v248, v[4:7] offset:2912
	ds_store_b128 v248, v[8:11] offset:11648
	;; [unrolled: 1-line block ×3, first 2 shown]
	global_wb scope:SCOPE_SE
	s_wait_dscnt 0x0
	s_barrier_signal -1
	s_barrier_wait -1
	global_inv scope:SCOPE_SE
	s_clause 0x3
	global_load_b128 v[0:3], v[32:33], off offset:11440
	global_load_b128 v[4:7], v[34:35], off offset:14352
	;; [unrolled: 1-line block ×4, first 2 shown]
	ds_load_b128 v[16:19], v248 offset:11648
	ds_load_b128 v[20:23], v248 offset:14560
	;; [unrolled: 1-line block ×4, first 2 shown]
	s_wait_loadcnt_dscnt 0x303
	v_mul_f64_e32 v[32:33], v[18:19], v[2:3]
	v_mul_f64_e32 v[2:3], v[16:17], v[2:3]
	s_wait_loadcnt_dscnt 0x202
	v_mul_f64_e32 v[34:35], v[22:23], v[6:7]
	v_mul_f64_e32 v[6:7], v[20:21], v[6:7]
	;; [unrolled: 3-line block ×4, first 2 shown]
	v_fma_f64 v[16:17], v[16:17], v[0:1], -v[32:33]
	v_fma_f64 v[18:19], v[18:19], v[0:1], v[2:3]
	v_fma_f64 v[20:21], v[20:21], v[4:5], -v[34:35]
	v_fma_f64 v[22:23], v[22:23], v[4:5], v[6:7]
	;; [unrolled: 2-line block ×4, first 2 shown]
	ds_load_b128 v[0:3], v248
	ds_load_b128 v[4:7], v248 offset:2912
	ds_load_b128 v[8:11], v248 offset:5824
	;; [unrolled: 1-line block ×3, first 2 shown]
	global_wb scope:SCOPE_SE
	s_wait_dscnt 0x0
	s_barrier_signal -1
	s_barrier_wait -1
	global_inv scope:SCOPE_SE
	v_add_f64_e64 v[16:17], v[0:1], -v[16:17]
	v_add_f64_e64 v[18:19], v[2:3], -v[18:19]
	;; [unrolled: 1-line block ×8, first 2 shown]
	v_fma_f64 v[0:1], v[0:1], 2.0, -v[16:17]
	v_fma_f64 v[2:3], v[2:3], 2.0, -v[18:19]
	;; [unrolled: 1-line block ×8, first 2 shown]
	ds_store_b128 v248, v[16:19] offset:11648
	ds_store_b128 v248, v[20:23] offset:14560
	;; [unrolled: 1-line block ×4, first 2 shown]
	ds_store_b128 v248, v[0:3]
	ds_store_b128 v248, v[4:7] offset:2912
	ds_store_b128 v248, v[8:11] offset:5824
	;; [unrolled: 1-line block ×3, first 2 shown]
	global_wb scope:SCOPE_SE
	s_wait_dscnt 0x0
	s_barrier_signal -1
	s_barrier_wait -1
	global_inv scope:SCOPE_SE
	s_and_saveexec_b32 s0, vcc_lo
	s_cbranch_execz .LBB0_25
; %bb.24:
	v_lshl_add_u32 v20, v72, 4, 0
	v_dual_mov_b32 v73, 0 :: v_dual_add_nc_u32 v8, 0xb6, v72
	ds_load_b128 v[0:3], v20
	ds_load_b128 v[4:7], v20 offset:2912
	scratch_load_b64 v[12:13], off, off offset:8 th:TH_LOAD_LU ; 8-byte Folded Reload
	v_mov_b32_e32 v9, v73
	v_lshlrev_b64_e32 v[10:11], 4, v[72:73]
	v_mov_b32_e32 v15, v73
	v_dual_mov_b32 v17, v73 :: v_dual_add_nc_u32 v18, 0x444, v72
	v_dual_mov_b32 v19, v73 :: v_dual_add_nc_u32 v14, 0x222, v72
	v_add_nc_u32_e32 v16, 0x38e, v72
	s_delay_alu instid0(VALU_DEP_1)
	v_lshlrev_b64_e32 v[30:31], 4, v[16:17]
	s_wait_loadcnt 0x0
	v_add_co_u32 v36, vcc_lo, s8, v12
	s_wait_alu 0xfffd
	v_add_co_ci_u32_e32 v37, vcc_lo, s9, v13, vcc_lo
	v_add_nc_u32_e32 v12, 0x16c, v72
	v_lshlrev_b64_e32 v[8:9], 4, v[8:9]
	v_add_co_u32 v10, vcc_lo, v36, v10
	v_mov_b32_e32 v13, v73
	s_wait_alu 0xfffd
	v_add_co_ci_u32_e32 v11, vcc_lo, v37, v11, vcc_lo
	s_delay_alu instid0(VALU_DEP_4)
	v_add_co_u32 v8, vcc_lo, v36, v8
	s_wait_alu 0xfffd
	v_add_co_ci_u32_e32 v9, vcc_lo, v37, v9, vcc_lo
	v_lshlrev_b64_e32 v[12:13], 4, v[12:13]
	s_wait_dscnt 0x1
	global_store_b128 v[10:11], v[0:3], off
	s_wait_dscnt 0x0
	global_store_b128 v[8:9], v[4:7], off
	v_add_nc_u32_e32 v10, 0x2d8, v72
	v_lshlrev_b64_e32 v[8:9], 4, v[14:15]
	v_mov_b32_e32 v11, v73
	v_add_co_u32 v24, vcc_lo, v36, v12
	s_wait_alu 0xfffd
	v_add_co_ci_u32_e32 v25, vcc_lo, v37, v13, vcc_lo
	s_delay_alu instid0(VALU_DEP_4)
	v_add_co_u32 v26, vcc_lo, v36, v8
	s_wait_alu 0xfffd
	v_add_co_ci_u32_e32 v27, vcc_lo, v37, v9, vcc_lo
	v_lshlrev_b64_e32 v[8:9], 4, v[10:11]
	ds_load_b128 v[0:3], v20 offset:5824
	ds_load_b128 v[4:7], v20 offset:8736
	v_add_nc_u32_e32 v72, 0x4fa, v72
	v_lshlrev_b64_e32 v[32:33], 4, v[18:19]
	v_add_co_u32 v28, vcc_lo, v36, v8
	s_wait_alu 0xfffd
	v_add_co_ci_u32_e32 v29, vcc_lo, v37, v9, vcc_lo
	ds_load_b128 v[8:11], v20 offset:11648
	ds_load_b128 v[12:15], v20 offset:14560
	;; [unrolled: 1-line block ×4, first 2 shown]
	v_add_co_u32 v30, vcc_lo, v36, v30
	v_lshlrev_b64_e32 v[34:35], 4, v[72:73]
	s_wait_alu 0xfffd
	v_add_co_ci_u32_e32 v31, vcc_lo, v37, v31, vcc_lo
	v_add_co_u32 v32, vcc_lo, v36, v32
	s_wait_alu 0xfffd
	v_add_co_ci_u32_e32 v33, vcc_lo, v37, v33, vcc_lo
	v_add_co_u32 v34, vcc_lo, v36, v34
	s_wait_alu 0xfffd
	v_add_co_ci_u32_e32 v35, vcc_lo, v37, v35, vcc_lo
	s_wait_dscnt 0x5
	global_store_b128 v[24:25], v[0:3], off
	s_wait_dscnt 0x4
	global_store_b128 v[26:27], v[4:7], off
	;; [unrolled: 2-line block ×6, first 2 shown]
.LBB0_25:
	s_nop 0
	s_sendmsg sendmsg(MSG_DEALLOC_VGPRS)
	s_endpgm
	.section	.rodata,"a",@progbits
	.p2align	6, 0x0
	.amdhsa_kernel fft_rtc_fwd_len1456_factors_13_4_7_2_2_wgs_182_tpt_182_halfLds_dp_ip_CI_unitstride_sbrr_C2R_dirReg
		.amdhsa_group_segment_fixed_size 0
		.amdhsa_private_segment_fixed_size 36
		.amdhsa_kernarg_size 88
		.amdhsa_user_sgpr_count 2
		.amdhsa_user_sgpr_dispatch_ptr 0
		.amdhsa_user_sgpr_queue_ptr 0
		.amdhsa_user_sgpr_kernarg_segment_ptr 1
		.amdhsa_user_sgpr_dispatch_id 0
		.amdhsa_user_sgpr_private_segment_size 0
		.amdhsa_wavefront_size32 1
		.amdhsa_uses_dynamic_stack 0
		.amdhsa_enable_private_segment 1
		.amdhsa_system_sgpr_workgroup_id_x 1
		.amdhsa_system_sgpr_workgroup_id_y 0
		.amdhsa_system_sgpr_workgroup_id_z 0
		.amdhsa_system_sgpr_workgroup_info 0
		.amdhsa_system_vgpr_workitem_id 0
		.amdhsa_next_free_vgpr 255
		.amdhsa_next_free_sgpr 44
		.amdhsa_reserve_vcc 1
		.amdhsa_float_round_mode_32 0
		.amdhsa_float_round_mode_16_64 0
		.amdhsa_float_denorm_mode_32 3
		.amdhsa_float_denorm_mode_16_64 3
		.amdhsa_fp16_overflow 0
		.amdhsa_workgroup_processor_mode 1
		.amdhsa_memory_ordered 1
		.amdhsa_forward_progress 0
		.amdhsa_round_robin_scheduling 0
		.amdhsa_exception_fp_ieee_invalid_op 0
		.amdhsa_exception_fp_denorm_src 0
		.amdhsa_exception_fp_ieee_div_zero 0
		.amdhsa_exception_fp_ieee_overflow 0
		.amdhsa_exception_fp_ieee_underflow 0
		.amdhsa_exception_fp_ieee_inexact 0
		.amdhsa_exception_int_div_zero 0
	.end_amdhsa_kernel
	.text
.Lfunc_end0:
	.size	fft_rtc_fwd_len1456_factors_13_4_7_2_2_wgs_182_tpt_182_halfLds_dp_ip_CI_unitstride_sbrr_C2R_dirReg, .Lfunc_end0-fft_rtc_fwd_len1456_factors_13_4_7_2_2_wgs_182_tpt_182_halfLds_dp_ip_CI_unitstride_sbrr_C2R_dirReg
                                        ; -- End function
	.section	.AMDGPU.csdata,"",@progbits
; Kernel info:
; codeLenInByte = 10276
; NumSgprs: 46
; NumVgprs: 255
; ScratchSize: 36
; MemoryBound: 0
; FloatMode: 240
; IeeeMode: 1
; LDSByteSize: 0 bytes/workgroup (compile time only)
; SGPRBlocks: 5
; VGPRBlocks: 31
; NumSGPRsForWavesPerEU: 46
; NumVGPRsForWavesPerEU: 255
; Occupancy: 5
; WaveLimiterHint : 1
; COMPUTE_PGM_RSRC2:SCRATCH_EN: 1
; COMPUTE_PGM_RSRC2:USER_SGPR: 2
; COMPUTE_PGM_RSRC2:TRAP_HANDLER: 0
; COMPUTE_PGM_RSRC2:TGID_X_EN: 1
; COMPUTE_PGM_RSRC2:TGID_Y_EN: 0
; COMPUTE_PGM_RSRC2:TGID_Z_EN: 0
; COMPUTE_PGM_RSRC2:TIDIG_COMP_CNT: 0
	.text
	.p2alignl 7, 3214868480
	.fill 96, 4, 3214868480
	.type	__hip_cuid_f4c2f25895e931db,@object ; @__hip_cuid_f4c2f25895e931db
	.section	.bss,"aw",@nobits
	.globl	__hip_cuid_f4c2f25895e931db
__hip_cuid_f4c2f25895e931db:
	.byte	0                               ; 0x0
	.size	__hip_cuid_f4c2f25895e931db, 1

	.ident	"AMD clang version 19.0.0git (https://github.com/RadeonOpenCompute/llvm-project roc-6.4.0 25133 c7fe45cf4b819c5991fe208aaa96edf142730f1d)"
	.section	".note.GNU-stack","",@progbits
	.addrsig
	.addrsig_sym __hip_cuid_f4c2f25895e931db
	.amdgpu_metadata
---
amdhsa.kernels:
  - .args:
      - .actual_access:  read_only
        .address_space:  global
        .offset:         0
        .size:           8
        .value_kind:     global_buffer
      - .offset:         8
        .size:           8
        .value_kind:     by_value
      - .actual_access:  read_only
        .address_space:  global
        .offset:         16
        .size:           8
        .value_kind:     global_buffer
      - .actual_access:  read_only
        .address_space:  global
        .offset:         24
        .size:           8
        .value_kind:     global_buffer
      - .offset:         32
        .size:           8
        .value_kind:     by_value
      - .actual_access:  read_only
        .address_space:  global
        .offset:         40
        .size:           8
        .value_kind:     global_buffer
      - .actual_access:  read_only
        .address_space:  global
        .offset:         48
        .size:           8
        .value_kind:     global_buffer
      - .offset:         56
        .size:           4
        .value_kind:     by_value
      - .actual_access:  read_only
        .address_space:  global
        .offset:         64
        .size:           8
        .value_kind:     global_buffer
      - .actual_access:  read_only
        .address_space:  global
        .offset:         72
        .size:           8
        .value_kind:     global_buffer
      - .address_space:  global
        .offset:         80
        .size:           8
        .value_kind:     global_buffer
    .group_segment_fixed_size: 0
    .kernarg_segment_align: 8
    .kernarg_segment_size: 88
    .language:       OpenCL C
    .language_version:
      - 2
      - 0
    .max_flat_workgroup_size: 182
    .name:           fft_rtc_fwd_len1456_factors_13_4_7_2_2_wgs_182_tpt_182_halfLds_dp_ip_CI_unitstride_sbrr_C2R_dirReg
    .private_segment_fixed_size: 36
    .sgpr_count:     46
    .sgpr_spill_count: 0
    .symbol:         fft_rtc_fwd_len1456_factors_13_4_7_2_2_wgs_182_tpt_182_halfLds_dp_ip_CI_unitstride_sbrr_C2R_dirReg.kd
    .uniform_work_group_size: 1
    .uses_dynamic_stack: false
    .vgpr_count:     255
    .vgpr_spill_count: 8
    .wavefront_size: 32
    .workgroup_processor_mode: 1
amdhsa.target:   amdgcn-amd-amdhsa--gfx1201
amdhsa.version:
  - 1
  - 2
...

	.end_amdgpu_metadata
